;; amdgpu-corpus repo=ROCm/vllm kind=compiled arch=gfx1100 opt=O3
	.text
	.amdgcn_target "amdgcn-amd-amdhsa--gfx1100"
	.amdhsa_code_object_version 6
	.section	.text._ZN4vllm3moe17topkGatingSoftmaxILi1ELi1ELi4ELi4ELi64EiEEvPKfPKbPfiPT4_Piiii,"axG",@progbits,_ZN4vllm3moe17topkGatingSoftmaxILi1ELi1ELi4ELi4ELi64EiEEvPKfPKbPfiPT4_Piiii,comdat
	.protected	_ZN4vllm3moe17topkGatingSoftmaxILi1ELi1ELi4ELi4ELi64EiEEvPKfPKbPfiPT4_Piiii ; -- Begin function _ZN4vllm3moe17topkGatingSoftmaxILi1ELi1ELi4ELi4ELi64EiEEvPKfPKbPfiPT4_Piiii
	.globl	_ZN4vllm3moe17topkGatingSoftmaxILi1ELi1ELi4ELi4ELi64EiEEvPKfPKbPfiPT4_Piiii
	.p2align	8
	.type	_ZN4vllm3moe17topkGatingSoftmaxILi1ELi1ELi4ELi4ELi64EiEEvPKfPKbPfiPT4_Piiii,@function
_ZN4vllm3moe17topkGatingSoftmaxILi1ELi1ELi4ELi4ELi64EiEEvPKfPKbPfiPT4_Piiii: ; @_ZN4vllm3moe17topkGatingSoftmaxILi1ELi1ELi4ELi4ELi64EiEEvPKfPKbPfiPT4_Piiii
; %bb.0:
	s_load_b32 s2, s[0:1], 0x18
	v_bfe_u32 v1, v0, 10, 10
	v_and_b32_e32 v0, 0x3ff, v0
	s_lshl_b32 s3, s15, 8
	s_delay_alu instid0(VALU_DEP_2) | instskip(NEXT) | instid1(VALU_DEP_1)
	v_lshlrev_b32_e32 v1, 6, v1
	v_add3_u32 v0, v1, v0, s3
	s_mov_b32 s3, exec_lo
	s_waitcnt lgkmcnt(0)
	s_delay_alu instid0(VALU_DEP_1)
	v_cmpx_gt_i32_e64 s2, v0
	s_cbranch_execz .LBB0_6
; %bb.1:
	s_load_b128 s[8:11], s[0:1], 0x0
	v_ashrrev_i32_e32 v1, 31, v0
	s_waitcnt lgkmcnt(0)
	s_cmp_eq_u64 s[10:11], 0
	s_cbranch_scc1 .LBB0_3
; %bb.2:
	v_add_co_u32 v2, vcc_lo, s10, v0
	v_add_co_ci_u32_e32 v3, vcc_lo, s11, v1, vcc_lo
	global_load_u8 v2, v[2:3], off
	s_waitcnt vmcnt(0)
	v_and_b32_e32 v2, 1, v2
	s_delay_alu instid0(VALU_DEP_1) | instskip(SKIP_1) | instid1(SALU_CYCLE_1)
	v_cmp_eq_u32_e32 vcc_lo, 1, v2
	s_xor_b32 s3, vcc_lo, -1
	s_or_not1_b32 s3, s3, exec_lo
	s_load_b128 s[4:7], s[0:1], 0x30
	s_waitcnt lgkmcnt(0)
	s_cmp_lt_i32 s4, 1
	s_cbranch_scc0 .LBB0_4
	s_branch .LBB0_6
.LBB0_3:
	s_mov_b32 s3, -1
	s_load_b128 s[4:7], s[0:1], 0x30
	s_waitcnt lgkmcnt(0)
	s_cmp_lt_i32 s4, 1
	s_cbranch_scc1 .LBB0_6
.LBB0_4:
	v_lshlrev_b64 v[1:2], 2, v[0:1]
	s_load_b64 s[12:13], s[0:1], 0x10
	s_cmp_lt_i32 s5, 1
	s_delay_alu instid0(VALU_DEP_1) | instskip(NEXT) | instid1(VALU_DEP_2)
	v_add_co_u32 v1, vcc_lo, s8, v1
	v_add_co_ci_u32_e32 v2, vcc_lo, s9, v2, vcc_lo
	s_load_b128 s[8:11], s[0:1], 0x20
	s_cselect_b32 s0, -1, 0
	s_cmp_gt_i32 s6, 0
	global_load_b32 v1, v[1:2], off
	s_cselect_b32 s1, -1, 0
	s_sub_i32 s5, 0, s5
	s_and_b32 s0, s0, s1
	s_delay_alu instid0(SALU_CYCLE_1) | instskip(SKIP_2) | instid1(VALU_DEP_1)
	s_and_b32 s0, s3, s0
	s_waitcnt vmcnt(0)
	v_sub_f32_e32 v1, v1, v1
	v_mul_f32_e32 v2, 0x3fb8aa3b, v1
	s_delay_alu instid0(VALU_DEP_1) | instskip(SKIP_1) | instid1(VALU_DEP_1)
	v_fma_f32 v3, 0x3fb8aa3b, v1, -v2
	v_rndne_f32_e32 v4, v2
	v_sub_f32_e32 v2, v2, v4
	v_cmp_ngt_f32_e32 vcc_lo, 0xc2ce8ed0, v1
	s_delay_alu instid0(VALU_DEP_4) | instskip(NEXT) | instid1(VALU_DEP_1)
	v_fmamk_f32 v3, v1, 0x32a5705f, v3
	v_add_f32_e32 v2, v2, v3
	v_cvt_i32_f32_e32 v3, v4
	s_delay_alu instid0(VALU_DEP_2) | instskip(SKIP_2) | instid1(VALU_DEP_1)
	v_exp_f32_e32 v2, v2
	s_waitcnt_depctr 0xfff
	v_ldexp_f32 v2, v2, v3
	v_cndmask_b32_e32 v2, 0, v2, vcc_lo
	v_cmp_nlt_f32_e32 vcc_lo, 0x42b17218, v1
	s_delay_alu instid0(VALU_DEP_2) | instskip(NEXT) | instid1(VALU_DEP_1)
	v_cndmask_b32_e32 v8, 0x7f800000, v2, vcc_lo
	v_div_scale_f32 v3, null, v8, v8, 1.0
	v_div_scale_f32 v7, vcc_lo, 1.0, v8, 1.0
	s_delay_alu instid0(VALU_DEP_2) | instskip(SKIP_2) | instid1(VALU_DEP_1)
	v_rcp_f32_e32 v4, v3
	s_waitcnt_depctr 0xfff
	v_fma_f32 v1, -v3, v4, 1.0
	v_fmac_f32_e32 v4, v1, v4
	v_mul_lo_u32 v1, v0, s4
	s_delay_alu instid0(VALU_DEP_2) | instskip(NEXT) | instid1(VALU_DEP_2)
	v_mul_f32_e32 v9, v7, v4
	v_ashrrev_i32_e32 v2, 31, v1
	s_delay_alu instid0(VALU_DEP_2) | instskip(NEXT) | instid1(VALU_DEP_1)
	v_fma_f32 v5, -v3, v9, v7
	v_fmac_f32_e32 v9, v5, v4
	s_delay_alu instid0(VALU_DEP_3) | instskip(NEXT) | instid1(VALU_DEP_2)
	v_lshlrev_b64 v[5:6], 2, v[1:2]
	v_fma_f32 v1, -v3, v9, v7
	v_cndmask_b32_e64 v7, 1, s5, s0
	s_mov_b32 s0, 0
	s_delay_alu instid0(VALU_DEP_2) | instskip(SKIP_3) | instid1(VALU_DEP_3)
	v_div_fmas_f32 v3, v1, v4, v9
	s_waitcnt lgkmcnt(0)
	v_add_co_u32 v1, vcc_lo, s12, v5
	v_add_co_ci_u32_e32 v2, vcc_lo, s13, v6, vcc_lo
	v_div_fixup_f32 v9, v3, v8, 1.0
	v_add_co_u32 v3, vcc_lo, s8, v5
	v_add_co_ci_u32_e32 v4, vcc_lo, s9, v6, vcc_lo
	v_add_co_u32 v5, vcc_lo, s10, v5
	s_delay_alu instid0(VALU_DEP_4)
	v_mul_f32_e32 v8, v8, v9
	v_add_co_ci_u32_e32 v6, vcc_lo, s11, v6, vcc_lo
	.p2align	6
.LBB0_5:                                ; =>This Inner Loop Header: Depth=1
	global_store_b32 v[1:2], v8, off
	global_store_b32 v[3:4], v7, off
	;; [unrolled: 1-line block ×3, first 2 shown]
	v_add_co_u32 v1, vcc_lo, v1, 4
	v_add_co_ci_u32_e32 v2, vcc_lo, 0, v2, vcc_lo
	v_add_co_u32 v3, vcc_lo, v3, 4
	s_add_i32 s0, s0, 1
	v_add_co_ci_u32_e32 v4, vcc_lo, 0, v4, vcc_lo
	v_add_co_u32 v5, vcc_lo, v5, 4
	s_cmp_ge_i32 s0, s4
	v_add_co_ci_u32_e32 v6, vcc_lo, 0, v6, vcc_lo
	s_cselect_b32 vcc_lo, -1, 0
	v_add_nc_u32_e32 v0, s2, v0
	v_cndmask_b32_e32 v8, 0xc61c4000, v8, vcc_lo
	s_cmp_lg_u32 s4, s0
	s_cbranch_scc1 .LBB0_5
.LBB0_6:
	s_nop 0
	s_sendmsg sendmsg(MSG_DEALLOC_VGPRS)
	s_endpgm
	.section	.rodata,"a",@progbits
	.p2align	6, 0x0
	.amdhsa_kernel _ZN4vllm3moe17topkGatingSoftmaxILi1ELi1ELi4ELi4ELi64EiEEvPKfPKbPfiPT4_Piiii
		.amdhsa_group_segment_fixed_size 0
		.amdhsa_private_segment_fixed_size 0
		.amdhsa_kernarg_size 60
		.amdhsa_user_sgpr_count 15
		.amdhsa_user_sgpr_dispatch_ptr 0
		.amdhsa_user_sgpr_queue_ptr 0
		.amdhsa_user_sgpr_kernarg_segment_ptr 1
		.amdhsa_user_sgpr_dispatch_id 0
		.amdhsa_user_sgpr_private_segment_size 0
		.amdhsa_wavefront_size32 1
		.amdhsa_uses_dynamic_stack 0
		.amdhsa_enable_private_segment 0
		.amdhsa_system_sgpr_workgroup_id_x 1
		.amdhsa_system_sgpr_workgroup_id_y 0
		.amdhsa_system_sgpr_workgroup_id_z 0
		.amdhsa_system_sgpr_workgroup_info 0
		.amdhsa_system_vgpr_workitem_id 1
		.amdhsa_next_free_vgpr 10
		.amdhsa_next_free_sgpr 16
		.amdhsa_reserve_vcc 1
		.amdhsa_float_round_mode_32 0
		.amdhsa_float_round_mode_16_64 0
		.amdhsa_float_denorm_mode_32 3
		.amdhsa_float_denorm_mode_16_64 3
		.amdhsa_dx10_clamp 1
		.amdhsa_ieee_mode 1
		.amdhsa_fp16_overflow 0
		.amdhsa_workgroup_processor_mode 1
		.amdhsa_memory_ordered 1
		.amdhsa_forward_progress 0
		.amdhsa_shared_vgpr_count 0
		.amdhsa_exception_fp_ieee_invalid_op 0
		.amdhsa_exception_fp_denorm_src 0
		.amdhsa_exception_fp_ieee_div_zero 0
		.amdhsa_exception_fp_ieee_overflow 0
		.amdhsa_exception_fp_ieee_underflow 0
		.amdhsa_exception_fp_ieee_inexact 0
		.amdhsa_exception_int_div_zero 0
	.end_amdhsa_kernel
	.section	.text._ZN4vllm3moe17topkGatingSoftmaxILi1ELi1ELi4ELi4ELi64EiEEvPKfPKbPfiPT4_Piiii,"axG",@progbits,_ZN4vllm3moe17topkGatingSoftmaxILi1ELi1ELi4ELi4ELi64EiEEvPKfPKbPfiPT4_Piiii,comdat
.Lfunc_end0:
	.size	_ZN4vllm3moe17topkGatingSoftmaxILi1ELi1ELi4ELi4ELi64EiEEvPKfPKbPfiPT4_Piiii, .Lfunc_end0-_ZN4vllm3moe17topkGatingSoftmaxILi1ELi1ELi4ELi4ELi64EiEEvPKfPKbPfiPT4_Piiii
                                        ; -- End function
	.section	.AMDGPU.csdata,"",@progbits
; Kernel info:
; codeLenInByte = 656
; NumSgprs: 18
; NumVgprs: 10
; ScratchSize: 0
; MemoryBound: 0
; FloatMode: 240
; IeeeMode: 1
; LDSByteSize: 0 bytes/workgroup (compile time only)
; SGPRBlocks: 2
; VGPRBlocks: 1
; NumSGPRsForWavesPerEU: 18
; NumVGPRsForWavesPerEU: 10
; Occupancy: 16
; WaveLimiterHint : 0
; COMPUTE_PGM_RSRC2:SCRATCH_EN: 0
; COMPUTE_PGM_RSRC2:USER_SGPR: 15
; COMPUTE_PGM_RSRC2:TRAP_HANDLER: 0
; COMPUTE_PGM_RSRC2:TGID_X_EN: 1
; COMPUTE_PGM_RSRC2:TGID_Y_EN: 0
; COMPUTE_PGM_RSRC2:TGID_Z_EN: 0
; COMPUTE_PGM_RSRC2:TIDIG_COMP_CNT: 1
	.section	.text._ZN4vllm3moe17topkGatingSoftmaxILi1ELi1ELi4ELi4ELi32EiEEvPKfPKbPfiPT4_Piiii,"axG",@progbits,_ZN4vllm3moe17topkGatingSoftmaxILi1ELi1ELi4ELi4ELi32EiEEvPKfPKbPfiPT4_Piiii,comdat
	.protected	_ZN4vllm3moe17topkGatingSoftmaxILi1ELi1ELi4ELi4ELi32EiEEvPKfPKbPfiPT4_Piiii ; -- Begin function _ZN4vllm3moe17topkGatingSoftmaxILi1ELi1ELi4ELi4ELi32EiEEvPKfPKbPfiPT4_Piiii
	.globl	_ZN4vllm3moe17topkGatingSoftmaxILi1ELi1ELi4ELi4ELi32EiEEvPKfPKbPfiPT4_Piiii
	.p2align	8
	.type	_ZN4vllm3moe17topkGatingSoftmaxILi1ELi1ELi4ELi4ELi32EiEEvPKfPKbPfiPT4_Piiii,@function
_ZN4vllm3moe17topkGatingSoftmaxILi1ELi1ELi4ELi4ELi32EiEEvPKfPKbPfiPT4_Piiii: ; @_ZN4vllm3moe17topkGatingSoftmaxILi1ELi1ELi4ELi4ELi32EiEEvPKfPKbPfiPT4_Piiii
; %bb.0:
	s_load_b32 s2, s[0:1], 0x18
	v_bfe_u32 v1, v0, 10, 10
	v_and_b32_e32 v0, 0x3ff, v0
	s_lshl_b32 s3, s15, 7
	s_delay_alu instid0(VALU_DEP_2) | instskip(NEXT) | instid1(VALU_DEP_1)
	v_lshlrev_b32_e32 v1, 5, v1
	v_add3_u32 v0, v1, v0, s3
	s_mov_b32 s3, exec_lo
	s_waitcnt lgkmcnt(0)
	s_delay_alu instid0(VALU_DEP_1)
	v_cmpx_gt_i32_e64 s2, v0
	s_cbranch_execz .LBB1_6
; %bb.1:
	s_load_b128 s[8:11], s[0:1], 0x0
	v_ashrrev_i32_e32 v1, 31, v0
	s_waitcnt lgkmcnt(0)
	s_cmp_eq_u64 s[10:11], 0
	s_cbranch_scc1 .LBB1_3
; %bb.2:
	v_add_co_u32 v2, vcc_lo, s10, v0
	v_add_co_ci_u32_e32 v3, vcc_lo, s11, v1, vcc_lo
	global_load_u8 v2, v[2:3], off
	s_waitcnt vmcnt(0)
	v_and_b32_e32 v2, 1, v2
	s_delay_alu instid0(VALU_DEP_1) | instskip(SKIP_1) | instid1(SALU_CYCLE_1)
	v_cmp_eq_u32_e32 vcc_lo, 1, v2
	s_xor_b32 s3, vcc_lo, -1
	s_or_not1_b32 s3, s3, exec_lo
	s_load_b128 s[4:7], s[0:1], 0x30
	s_waitcnt lgkmcnt(0)
	s_cmp_lt_i32 s4, 1
	s_cbranch_scc0 .LBB1_4
	s_branch .LBB1_6
.LBB1_3:
	s_mov_b32 s3, -1
	s_load_b128 s[4:7], s[0:1], 0x30
	s_waitcnt lgkmcnt(0)
	s_cmp_lt_i32 s4, 1
	s_cbranch_scc1 .LBB1_6
.LBB1_4:
	v_lshlrev_b64 v[1:2], 2, v[0:1]
	s_load_b64 s[12:13], s[0:1], 0x10
	s_cmp_lt_i32 s5, 1
	s_delay_alu instid0(VALU_DEP_1) | instskip(NEXT) | instid1(VALU_DEP_2)
	v_add_co_u32 v1, vcc_lo, s8, v1
	v_add_co_ci_u32_e32 v2, vcc_lo, s9, v2, vcc_lo
	s_load_b128 s[8:11], s[0:1], 0x20
	s_cselect_b32 s0, -1, 0
	s_cmp_gt_i32 s6, 0
	global_load_b32 v1, v[1:2], off
	s_cselect_b32 s1, -1, 0
	s_sub_i32 s5, 0, s5
	s_and_b32 s0, s0, s1
	s_delay_alu instid0(SALU_CYCLE_1) | instskip(SKIP_2) | instid1(VALU_DEP_1)
	s_and_b32 s0, s3, s0
	s_waitcnt vmcnt(0)
	v_sub_f32_e32 v1, v1, v1
	v_mul_f32_e32 v2, 0x3fb8aa3b, v1
	s_delay_alu instid0(VALU_DEP_1) | instskip(SKIP_1) | instid1(VALU_DEP_1)
	v_fma_f32 v3, 0x3fb8aa3b, v1, -v2
	v_rndne_f32_e32 v4, v2
	v_sub_f32_e32 v2, v2, v4
	v_cmp_ngt_f32_e32 vcc_lo, 0xc2ce8ed0, v1
	s_delay_alu instid0(VALU_DEP_4) | instskip(NEXT) | instid1(VALU_DEP_1)
	v_fmamk_f32 v3, v1, 0x32a5705f, v3
	v_add_f32_e32 v2, v2, v3
	v_cvt_i32_f32_e32 v3, v4
	s_delay_alu instid0(VALU_DEP_2) | instskip(SKIP_2) | instid1(VALU_DEP_1)
	v_exp_f32_e32 v2, v2
	s_waitcnt_depctr 0xfff
	v_ldexp_f32 v2, v2, v3
	v_cndmask_b32_e32 v2, 0, v2, vcc_lo
	v_cmp_nlt_f32_e32 vcc_lo, 0x42b17218, v1
	s_delay_alu instid0(VALU_DEP_2) | instskip(NEXT) | instid1(VALU_DEP_1)
	v_cndmask_b32_e32 v8, 0x7f800000, v2, vcc_lo
	v_div_scale_f32 v3, null, v8, v8, 1.0
	v_div_scale_f32 v7, vcc_lo, 1.0, v8, 1.0
	s_delay_alu instid0(VALU_DEP_2) | instskip(SKIP_2) | instid1(VALU_DEP_1)
	v_rcp_f32_e32 v4, v3
	s_waitcnt_depctr 0xfff
	v_fma_f32 v1, -v3, v4, 1.0
	v_fmac_f32_e32 v4, v1, v4
	v_mul_lo_u32 v1, v0, s4
	s_delay_alu instid0(VALU_DEP_2) | instskip(NEXT) | instid1(VALU_DEP_2)
	v_mul_f32_e32 v9, v7, v4
	v_ashrrev_i32_e32 v2, 31, v1
	s_delay_alu instid0(VALU_DEP_2) | instskip(NEXT) | instid1(VALU_DEP_1)
	v_fma_f32 v5, -v3, v9, v7
	v_fmac_f32_e32 v9, v5, v4
	s_delay_alu instid0(VALU_DEP_3) | instskip(NEXT) | instid1(VALU_DEP_2)
	v_lshlrev_b64 v[5:6], 2, v[1:2]
	v_fma_f32 v1, -v3, v9, v7
	v_cndmask_b32_e64 v7, 1, s5, s0
	s_mov_b32 s0, 0
	s_delay_alu instid0(VALU_DEP_2) | instskip(SKIP_3) | instid1(VALU_DEP_3)
	v_div_fmas_f32 v3, v1, v4, v9
	s_waitcnt lgkmcnt(0)
	v_add_co_u32 v1, vcc_lo, s12, v5
	v_add_co_ci_u32_e32 v2, vcc_lo, s13, v6, vcc_lo
	v_div_fixup_f32 v9, v3, v8, 1.0
	v_add_co_u32 v3, vcc_lo, s8, v5
	v_add_co_ci_u32_e32 v4, vcc_lo, s9, v6, vcc_lo
	v_add_co_u32 v5, vcc_lo, s10, v5
	s_delay_alu instid0(VALU_DEP_4)
	v_mul_f32_e32 v8, v8, v9
	v_add_co_ci_u32_e32 v6, vcc_lo, s11, v6, vcc_lo
	.p2align	6
.LBB1_5:                                ; =>This Inner Loop Header: Depth=1
	global_store_b32 v[1:2], v8, off
	global_store_b32 v[3:4], v7, off
	;; [unrolled: 1-line block ×3, first 2 shown]
	v_add_co_u32 v1, vcc_lo, v1, 4
	v_add_co_ci_u32_e32 v2, vcc_lo, 0, v2, vcc_lo
	v_add_co_u32 v3, vcc_lo, v3, 4
	s_add_i32 s0, s0, 1
	v_add_co_ci_u32_e32 v4, vcc_lo, 0, v4, vcc_lo
	v_add_co_u32 v5, vcc_lo, v5, 4
	s_cmp_ge_i32 s0, s4
	v_add_co_ci_u32_e32 v6, vcc_lo, 0, v6, vcc_lo
	s_cselect_b32 vcc_lo, -1, 0
	v_add_nc_u32_e32 v0, s2, v0
	v_cndmask_b32_e32 v8, 0xc61c4000, v8, vcc_lo
	s_cmp_lg_u32 s4, s0
	s_cbranch_scc1 .LBB1_5
.LBB1_6:
	s_nop 0
	s_sendmsg sendmsg(MSG_DEALLOC_VGPRS)
	s_endpgm
	.section	.rodata,"a",@progbits
	.p2align	6, 0x0
	.amdhsa_kernel _ZN4vllm3moe17topkGatingSoftmaxILi1ELi1ELi4ELi4ELi32EiEEvPKfPKbPfiPT4_Piiii
		.amdhsa_group_segment_fixed_size 0
		.amdhsa_private_segment_fixed_size 0
		.amdhsa_kernarg_size 60
		.amdhsa_user_sgpr_count 15
		.amdhsa_user_sgpr_dispatch_ptr 0
		.amdhsa_user_sgpr_queue_ptr 0
		.amdhsa_user_sgpr_kernarg_segment_ptr 1
		.amdhsa_user_sgpr_dispatch_id 0
		.amdhsa_user_sgpr_private_segment_size 0
		.amdhsa_wavefront_size32 1
		.amdhsa_uses_dynamic_stack 0
		.amdhsa_enable_private_segment 0
		.amdhsa_system_sgpr_workgroup_id_x 1
		.amdhsa_system_sgpr_workgroup_id_y 0
		.amdhsa_system_sgpr_workgroup_id_z 0
		.amdhsa_system_sgpr_workgroup_info 0
		.amdhsa_system_vgpr_workitem_id 1
		.amdhsa_next_free_vgpr 10
		.amdhsa_next_free_sgpr 16
		.amdhsa_reserve_vcc 1
		.amdhsa_float_round_mode_32 0
		.amdhsa_float_round_mode_16_64 0
		.amdhsa_float_denorm_mode_32 3
		.amdhsa_float_denorm_mode_16_64 3
		.amdhsa_dx10_clamp 1
		.amdhsa_ieee_mode 1
		.amdhsa_fp16_overflow 0
		.amdhsa_workgroup_processor_mode 1
		.amdhsa_memory_ordered 1
		.amdhsa_forward_progress 0
		.amdhsa_shared_vgpr_count 0
		.amdhsa_exception_fp_ieee_invalid_op 0
		.amdhsa_exception_fp_denorm_src 0
		.amdhsa_exception_fp_ieee_div_zero 0
		.amdhsa_exception_fp_ieee_overflow 0
		.amdhsa_exception_fp_ieee_underflow 0
		.amdhsa_exception_fp_ieee_inexact 0
		.amdhsa_exception_int_div_zero 0
	.end_amdhsa_kernel
	.section	.text._ZN4vllm3moe17topkGatingSoftmaxILi1ELi1ELi4ELi4ELi32EiEEvPKfPKbPfiPT4_Piiii,"axG",@progbits,_ZN4vllm3moe17topkGatingSoftmaxILi1ELi1ELi4ELi4ELi32EiEEvPKfPKbPfiPT4_Piiii,comdat
.Lfunc_end1:
	.size	_ZN4vllm3moe17topkGatingSoftmaxILi1ELi1ELi4ELi4ELi32EiEEvPKfPKbPfiPT4_Piiii, .Lfunc_end1-_ZN4vllm3moe17topkGatingSoftmaxILi1ELi1ELi4ELi4ELi32EiEEvPKfPKbPfiPT4_Piiii
                                        ; -- End function
	.section	.AMDGPU.csdata,"",@progbits
; Kernel info:
; codeLenInByte = 656
; NumSgprs: 18
; NumVgprs: 10
; ScratchSize: 0
; MemoryBound: 0
; FloatMode: 240
; IeeeMode: 1
; LDSByteSize: 0 bytes/workgroup (compile time only)
; SGPRBlocks: 2
; VGPRBlocks: 1
; NumSGPRsForWavesPerEU: 18
; NumVGPRsForWavesPerEU: 10
; Occupancy: 16
; WaveLimiterHint : 0
; COMPUTE_PGM_RSRC2:SCRATCH_EN: 0
; COMPUTE_PGM_RSRC2:USER_SGPR: 15
; COMPUTE_PGM_RSRC2:TRAP_HANDLER: 0
; COMPUTE_PGM_RSRC2:TGID_X_EN: 1
; COMPUTE_PGM_RSRC2:TGID_Y_EN: 0
; COMPUTE_PGM_RSRC2:TGID_Z_EN: 0
; COMPUTE_PGM_RSRC2:TIDIG_COMP_CNT: 1
	.section	.text._ZN4vllm3moe17topkGatingSoftmaxILi2ELi2ELi4ELi8ELi64EiEEvPKfPKbPfiPT4_Piiii,"axG",@progbits,_ZN4vllm3moe17topkGatingSoftmaxILi2ELi2ELi4ELi8ELi64EiEEvPKfPKbPfiPT4_Piiii,comdat
	.protected	_ZN4vllm3moe17topkGatingSoftmaxILi2ELi2ELi4ELi8ELi64EiEEvPKfPKbPfiPT4_Piiii ; -- Begin function _ZN4vllm3moe17topkGatingSoftmaxILi2ELi2ELi4ELi8ELi64EiEEvPKfPKbPfiPT4_Piiii
	.globl	_ZN4vllm3moe17topkGatingSoftmaxILi2ELi2ELi4ELi8ELi64EiEEvPKfPKbPfiPT4_Piiii
	.p2align	8
	.type	_ZN4vllm3moe17topkGatingSoftmaxILi2ELi2ELi4ELi8ELi64EiEEvPKfPKbPfiPT4_Piiii,@function
_ZN4vllm3moe17topkGatingSoftmaxILi2ELi2ELi4ELi8ELi64EiEEvPKfPKbPfiPT4_Piiii: ; @_ZN4vllm3moe17topkGatingSoftmaxILi2ELi2ELi4ELi8ELi64EiEEvPKfPKbPfiPT4_Piiii
; %bb.0:
	s_load_b32 s2, s[0:1], 0x18
	v_bfe_u32 v1, v0, 10, 10
	v_and_b32_e32 v0, 0x3ff, v0
	s_lshl_b32 s3, s15, 8
	s_delay_alu instid0(VALU_DEP_2) | instskip(NEXT) | instid1(VALU_DEP_1)
	v_lshlrev_b32_e32 v1, 6, v1
	v_add3_u32 v6, v1, v0, s3
	s_mov_b32 s3, exec_lo
	s_waitcnt lgkmcnt(0)
	s_delay_alu instid0(VALU_DEP_1)
	v_cmpx_gt_i32_e64 s2, v6
	s_cbranch_execz .LBB2_6
; %bb.1:
	s_load_b128 s[8:11], s[0:1], 0x0
	s_waitcnt lgkmcnt(0)
	s_cmp_eq_u64 s[10:11], 0
	s_cbranch_scc1 .LBB2_3
; %bb.2:
	v_ashrrev_i32_e32 v1, 31, v6
	v_add_co_u32 v0, vcc_lo, s10, v6
	s_delay_alu instid0(VALU_DEP_2) | instskip(SKIP_3) | instid1(VALU_DEP_1)
	v_add_co_ci_u32_e32 v1, vcc_lo, s11, v1, vcc_lo
	global_load_u8 v0, v[0:1], off
	s_waitcnt vmcnt(0)
	v_and_b32_e32 v0, 1, v0
	v_cmp_eq_u32_e32 vcc_lo, 1, v0
	s_xor_b32 s3, vcc_lo, -1
	s_delay_alu instid0(SALU_CYCLE_1)
	s_or_not1_b32 s3, s3, exec_lo
	s_load_b128 s[4:7], s[0:1], 0x30
	s_waitcnt lgkmcnt(0)
	s_cmp_lt_i32 s4, 1
	s_cbranch_scc0 .LBB2_4
	s_branch .LBB2_6
.LBB2_3:
	s_mov_b32 s3, -1
	s_load_b128 s[4:7], s[0:1], 0x30
	s_waitcnt lgkmcnt(0)
	s_cmp_lt_i32 s4, 1
	s_cbranch_scc1 .LBB2_6
.LBB2_4:
	v_lshlrev_b32_e32 v0, 1, v6
	s_load_b64 s[12:13], s[0:1], 0x10
	s_mov_b32 s7, 0
	s_delay_alu instid0(VALU_DEP_1) | instskip(NEXT) | instid1(VALU_DEP_1)
	v_ashrrev_i32_e32 v1, 31, v0
	v_lshlrev_b64 v[0:1], 2, v[0:1]
	s_delay_alu instid0(VALU_DEP_1) | instskip(NEXT) | instid1(VALU_DEP_2)
	v_add_co_u32 v0, vcc_lo, s8, v0
	v_add_co_ci_u32_e32 v1, vcc_lo, s9, v1, vcc_lo
	s_load_b128 s[8:11], s[0:1], 0x20
	global_load_b64 v[0:1], v[0:1], off
	s_waitcnt vmcnt(0)
	v_dual_max_f32 v2, v1, v1 :: v_dual_max_f32 v3, v0, v0
	s_delay_alu instid0(VALU_DEP_1) | instskip(NEXT) | instid1(VALU_DEP_1)
	v_max_f32_e32 v2, v3, v2
	v_sub_f32_e32 v1, v1, v2
	s_delay_alu instid0(VALU_DEP_1) | instskip(NEXT) | instid1(VALU_DEP_1)
	v_mul_f32_e32 v3, 0x3fb8aa3b, v1
	v_fma_f32 v7, 0x3fb8aa3b, v1, -v3
	v_rndne_f32_e32 v8, v3
	s_delay_alu instid0(VALU_DEP_2) | instskip(NEXT) | instid1(VALU_DEP_2)
	v_dual_fmac_f32 v7, 0x32a5705f, v1 :: v_dual_sub_f32 v0, v0, v2
	v_sub_f32_e32 v3, v3, v8
	s_delay_alu instid0(VALU_DEP_2) | instskip(SKIP_1) | instid1(VALU_DEP_3)
	v_mul_f32_e32 v2, 0x3fb8aa3b, v0
	v_cmp_ngt_f32_e32 vcc_lo, 0xc2ce8ed0, v0
	v_add_f32_e32 v3, v3, v7
	s_delay_alu instid0(VALU_DEP_3) | instskip(SKIP_1) | instid1(VALU_DEP_3)
	v_fma_f32 v4, 0x3fb8aa3b, v0, -v2
	v_rndne_f32_e32 v5, v2
	v_exp_f32_e32 v3, v3
	s_delay_alu instid0(VALU_DEP_2) | instskip(NEXT) | instid1(VALU_DEP_2)
	v_fmac_f32_e32 v4, 0x32a5705f, v0
	v_sub_f32_e32 v2, v2, v5
	s_delay_alu instid0(VALU_DEP_1) | instskip(SKIP_2) | instid1(VALU_DEP_3)
	v_add_f32_e32 v2, v2, v4
	v_cvt_i32_f32_e32 v4, v5
	v_cvt_i32_f32_e32 v5, v8
	v_exp_f32_e32 v2, v2
	s_delay_alu instid0(TRANS32_DEP_2) | instid1(VALU_DEP_1)
	v_ldexp_f32 v3, v3, v5
	s_waitcnt_depctr 0xfff
	v_ldexp_f32 v2, v2, v4
	s_delay_alu instid0(VALU_DEP_1) | instskip(SKIP_3) | instid1(VALU_DEP_4)
	v_cndmask_b32_e32 v2, 0, v2, vcc_lo
	v_cmp_ngt_f32_e32 vcc_lo, 0xc2ce8ed0, v1
	v_cndmask_b32_e32 v3, 0, v3, vcc_lo
	v_cmp_nlt_f32_e32 vcc_lo, 0x42b17218, v0
	v_cndmask_b32_e32 v8, 0x7f800000, v2, vcc_lo
	v_cmp_nlt_f32_e32 vcc_lo, 0x42b17218, v1
	s_delay_alu instid0(VALU_DEP_4) | instskip(NEXT) | instid1(VALU_DEP_1)
	v_cndmask_b32_e32 v7, 0x7f800000, v3, vcc_lo
	v_add_f32_e32 v2, v8, v7
	s_delay_alu instid0(VALU_DEP_1) | instskip(SKIP_1) | instid1(VALU_DEP_2)
	v_div_scale_f32 v3, null, v2, v2, 1.0
	v_div_scale_f32 v4, vcc_lo, 1.0, v2, 1.0
	v_rcp_f32_e32 v9, v3
	s_waitcnt_depctr 0xfff
	v_fma_f32 v0, -v3, v9, 1.0
	s_delay_alu instid0(VALU_DEP_1) | instskip(SKIP_1) | instid1(VALU_DEP_2)
	v_fmac_f32_e32 v9, v0, v9
	v_mul_lo_u32 v0, v6, s4
	v_mul_f32_e32 v10, v4, v9
	s_delay_alu instid0(VALU_DEP_1) | instskip(NEXT) | instid1(VALU_DEP_1)
	v_fma_f32 v1, -v3, v10, v4
	v_fmac_f32_e32 v10, v1, v9
	s_delay_alu instid0(VALU_DEP_4) | instskip(NEXT) | instid1(VALU_DEP_2)
	v_ashrrev_i32_e32 v1, 31, v0
	v_fma_f32 v3, -v3, v10, v4
	s_delay_alu instid0(VALU_DEP_2) | instskip(NEXT) | instid1(VALU_DEP_2)
	v_lshlrev_b64 v[4:5], 2, v[0:1]
	v_div_fmas_f32 v3, v3, v9, v10
	s_waitcnt lgkmcnt(0)
	s_delay_alu instid0(VALU_DEP_2) | instskip(NEXT) | instid1(VALU_DEP_3)
	v_add_co_u32 v0, vcc_lo, s12, v4
	v_add_co_ci_u32_e32 v1, vcc_lo, s13, v5, vcc_lo
	s_delay_alu instid0(VALU_DEP_3) | instskip(SKIP_2) | instid1(VALU_DEP_3)
	v_div_fixup_f32 v9, v3, v2, 1.0
	v_add_co_u32 v2, vcc_lo, s8, v4
	v_add_co_ci_u32_e32 v3, vcc_lo, s9, v5, vcc_lo
	v_mul_f32_e32 v7, v9, v7
	v_add_co_u32 v4, vcc_lo, s10, v4
	v_mul_f32_e32 v8, v9, v8
	v_add_co_ci_u32_e32 v5, vcc_lo, s11, v5, vcc_lo
	s_set_inst_prefetch_distance 0x1
	.p2align	6
.LBB2_5:                                ; =>This Inner Loop Header: Depth=1
	s_delay_alu instid0(VALU_DEP_2) | instskip(SKIP_4) | instid1(VALU_DEP_3)
	v_cmp_gt_f32_e32 vcc_lo, v7, v8
	s_add_i32 s7, s7, 1
	v_cndmask_b32_e64 v10, 0, 1, vcc_lo
	v_cndmask_b32_e32 v9, v8, v7, vcc_lo
	v_cndmask_b32_e64 v11, v7, 0xc61c4000, vcc_lo
	v_cmp_le_i32_e64 s0, s5, v10
	v_cmp_gt_i32_e64 s1, s6, v10
	v_subrev_nc_u32_e32 v10, s5, v10
	global_store_b32 v[0:1], v9, off
	v_cndmask_b32_e32 v9, 0xc61c4000, v8, vcc_lo
	s_and_b32 s0, s0, s1
	s_delay_alu instid0(SALU_CYCLE_1)
	s_and_b32 s0, s3, s0
	s_cmp_lt_i32 s7, s4
	v_cndmask_b32_e64 v10, 2, v10, s0
	s_cselect_b32 vcc_lo, -1, 0
	s_cmp_lg_u32 s4, s7
	v_dual_cndmask_b32 v8, v8, v9 :: v_dual_cndmask_b32 v7, v7, v11
	v_add_co_u32 v0, vcc_lo, v0, 4
	v_add_co_ci_u32_e32 v1, vcc_lo, 0, v1, vcc_lo
	global_store_b32 v[2:3], v10, off
	global_store_b32 v[4:5], v6, off
	v_add_co_u32 v2, vcc_lo, v2, 4
	v_add_co_ci_u32_e32 v3, vcc_lo, 0, v3, vcc_lo
	v_add_co_u32 v4, vcc_lo, v4, 4
	v_add_nc_u32_e32 v6, s2, v6
	v_add_co_ci_u32_e32 v5, vcc_lo, 0, v5, vcc_lo
	s_cbranch_scc1 .LBB2_5
.LBB2_6:
	s_set_inst_prefetch_distance 0x2
	s_nop 0
	s_sendmsg sendmsg(MSG_DEALLOC_VGPRS)
	s_endpgm
	.section	.rodata,"a",@progbits
	.p2align	6, 0x0
	.amdhsa_kernel _ZN4vllm3moe17topkGatingSoftmaxILi2ELi2ELi4ELi8ELi64EiEEvPKfPKbPfiPT4_Piiii
		.amdhsa_group_segment_fixed_size 0
		.amdhsa_private_segment_fixed_size 0
		.amdhsa_kernarg_size 60
		.amdhsa_user_sgpr_count 15
		.amdhsa_user_sgpr_dispatch_ptr 0
		.amdhsa_user_sgpr_queue_ptr 0
		.amdhsa_user_sgpr_kernarg_segment_ptr 1
		.amdhsa_user_sgpr_dispatch_id 0
		.amdhsa_user_sgpr_private_segment_size 0
		.amdhsa_wavefront_size32 1
		.amdhsa_uses_dynamic_stack 0
		.amdhsa_enable_private_segment 0
		.amdhsa_system_sgpr_workgroup_id_x 1
		.amdhsa_system_sgpr_workgroup_id_y 0
		.amdhsa_system_sgpr_workgroup_id_z 0
		.amdhsa_system_sgpr_workgroup_info 0
		.amdhsa_system_vgpr_workitem_id 1
		.amdhsa_next_free_vgpr 12
		.amdhsa_next_free_sgpr 16
		.amdhsa_reserve_vcc 1
		.amdhsa_float_round_mode_32 0
		.amdhsa_float_round_mode_16_64 0
		.amdhsa_float_denorm_mode_32 3
		.amdhsa_float_denorm_mode_16_64 3
		.amdhsa_dx10_clamp 1
		.amdhsa_ieee_mode 1
		.amdhsa_fp16_overflow 0
		.amdhsa_workgroup_processor_mode 1
		.amdhsa_memory_ordered 1
		.amdhsa_forward_progress 0
		.amdhsa_shared_vgpr_count 0
		.amdhsa_exception_fp_ieee_invalid_op 0
		.amdhsa_exception_fp_denorm_src 0
		.amdhsa_exception_fp_ieee_div_zero 0
		.amdhsa_exception_fp_ieee_overflow 0
		.amdhsa_exception_fp_ieee_underflow 0
		.amdhsa_exception_fp_ieee_inexact 0
		.amdhsa_exception_int_div_zero 0
	.end_amdhsa_kernel
	.section	.text._ZN4vllm3moe17topkGatingSoftmaxILi2ELi2ELi4ELi8ELi64EiEEvPKfPKbPfiPT4_Piiii,"axG",@progbits,_ZN4vllm3moe17topkGatingSoftmaxILi2ELi2ELi4ELi8ELi64EiEEvPKfPKbPfiPT4_Piiii,comdat
.Lfunc_end2:
	.size	_ZN4vllm3moe17topkGatingSoftmaxILi2ELi2ELi4ELi8ELi64EiEEvPKfPKbPfiPT4_Piiii, .Lfunc_end2-_ZN4vllm3moe17topkGatingSoftmaxILi2ELi2ELi4ELi8ELi64EiEEvPKfPKbPfiPT4_Piiii
                                        ; -- End function
	.section	.AMDGPU.csdata,"",@progbits
; Kernel info:
; codeLenInByte = 856
; NumSgprs: 18
; NumVgprs: 12
; ScratchSize: 0
; MemoryBound: 0
; FloatMode: 240
; IeeeMode: 1
; LDSByteSize: 0 bytes/workgroup (compile time only)
; SGPRBlocks: 2
; VGPRBlocks: 1
; NumSGPRsForWavesPerEU: 18
; NumVGPRsForWavesPerEU: 12
; Occupancy: 16
; WaveLimiterHint : 0
; COMPUTE_PGM_RSRC2:SCRATCH_EN: 0
; COMPUTE_PGM_RSRC2:USER_SGPR: 15
; COMPUTE_PGM_RSRC2:TRAP_HANDLER: 0
; COMPUTE_PGM_RSRC2:TGID_X_EN: 1
; COMPUTE_PGM_RSRC2:TGID_Y_EN: 0
; COMPUTE_PGM_RSRC2:TGID_Z_EN: 0
; COMPUTE_PGM_RSRC2:TIDIG_COMP_CNT: 1
	.section	.text._ZN4vllm3moe17topkGatingSoftmaxILi2ELi2ELi4ELi8ELi32EiEEvPKfPKbPfiPT4_Piiii,"axG",@progbits,_ZN4vllm3moe17topkGatingSoftmaxILi2ELi2ELi4ELi8ELi32EiEEvPKfPKbPfiPT4_Piiii,comdat
	.protected	_ZN4vllm3moe17topkGatingSoftmaxILi2ELi2ELi4ELi8ELi32EiEEvPKfPKbPfiPT4_Piiii ; -- Begin function _ZN4vllm3moe17topkGatingSoftmaxILi2ELi2ELi4ELi8ELi32EiEEvPKfPKbPfiPT4_Piiii
	.globl	_ZN4vllm3moe17topkGatingSoftmaxILi2ELi2ELi4ELi8ELi32EiEEvPKfPKbPfiPT4_Piiii
	.p2align	8
	.type	_ZN4vllm3moe17topkGatingSoftmaxILi2ELi2ELi4ELi8ELi32EiEEvPKfPKbPfiPT4_Piiii,@function
_ZN4vllm3moe17topkGatingSoftmaxILi2ELi2ELi4ELi8ELi32EiEEvPKfPKbPfiPT4_Piiii: ; @_ZN4vllm3moe17topkGatingSoftmaxILi2ELi2ELi4ELi8ELi32EiEEvPKfPKbPfiPT4_Piiii
; %bb.0:
	s_load_b32 s2, s[0:1], 0x18
	v_bfe_u32 v1, v0, 10, 10
	v_and_b32_e32 v0, 0x3ff, v0
	s_lshl_b32 s3, s15, 7
	s_delay_alu instid0(VALU_DEP_2) | instskip(NEXT) | instid1(VALU_DEP_1)
	v_lshlrev_b32_e32 v1, 5, v1
	v_add3_u32 v6, v1, v0, s3
	s_mov_b32 s3, exec_lo
	s_waitcnt lgkmcnt(0)
	s_delay_alu instid0(VALU_DEP_1)
	v_cmpx_gt_i32_e64 s2, v6
	s_cbranch_execz .LBB3_6
; %bb.1:
	s_load_b128 s[8:11], s[0:1], 0x0
	s_waitcnt lgkmcnt(0)
	s_cmp_eq_u64 s[10:11], 0
	s_cbranch_scc1 .LBB3_3
; %bb.2:
	v_ashrrev_i32_e32 v1, 31, v6
	v_add_co_u32 v0, vcc_lo, s10, v6
	s_delay_alu instid0(VALU_DEP_2) | instskip(SKIP_3) | instid1(VALU_DEP_1)
	v_add_co_ci_u32_e32 v1, vcc_lo, s11, v1, vcc_lo
	global_load_u8 v0, v[0:1], off
	s_waitcnt vmcnt(0)
	v_and_b32_e32 v0, 1, v0
	v_cmp_eq_u32_e32 vcc_lo, 1, v0
	s_xor_b32 s3, vcc_lo, -1
	s_delay_alu instid0(SALU_CYCLE_1)
	s_or_not1_b32 s3, s3, exec_lo
	s_load_b128 s[4:7], s[0:1], 0x30
	s_waitcnt lgkmcnt(0)
	s_cmp_lt_i32 s4, 1
	s_cbranch_scc0 .LBB3_4
	s_branch .LBB3_6
.LBB3_3:
	s_mov_b32 s3, -1
	s_load_b128 s[4:7], s[0:1], 0x30
	s_waitcnt lgkmcnt(0)
	s_cmp_lt_i32 s4, 1
	s_cbranch_scc1 .LBB3_6
.LBB3_4:
	v_lshlrev_b32_e32 v0, 1, v6
	s_load_b64 s[12:13], s[0:1], 0x10
	s_mov_b32 s7, 0
	s_delay_alu instid0(VALU_DEP_1) | instskip(NEXT) | instid1(VALU_DEP_1)
	v_ashrrev_i32_e32 v1, 31, v0
	v_lshlrev_b64 v[0:1], 2, v[0:1]
	s_delay_alu instid0(VALU_DEP_1) | instskip(NEXT) | instid1(VALU_DEP_2)
	v_add_co_u32 v0, vcc_lo, s8, v0
	v_add_co_ci_u32_e32 v1, vcc_lo, s9, v1, vcc_lo
	s_load_b128 s[8:11], s[0:1], 0x20
	global_load_b64 v[0:1], v[0:1], off
	s_waitcnt vmcnt(0)
	v_dual_max_f32 v2, v1, v1 :: v_dual_max_f32 v3, v0, v0
	s_delay_alu instid0(VALU_DEP_1) | instskip(NEXT) | instid1(VALU_DEP_1)
	v_max_f32_e32 v2, v3, v2
	v_sub_f32_e32 v1, v1, v2
	s_delay_alu instid0(VALU_DEP_1) | instskip(NEXT) | instid1(VALU_DEP_1)
	v_mul_f32_e32 v3, 0x3fb8aa3b, v1
	v_fma_f32 v7, 0x3fb8aa3b, v1, -v3
	v_rndne_f32_e32 v8, v3
	s_delay_alu instid0(VALU_DEP_2) | instskip(NEXT) | instid1(VALU_DEP_2)
	v_dual_fmac_f32 v7, 0x32a5705f, v1 :: v_dual_sub_f32 v0, v0, v2
	v_sub_f32_e32 v3, v3, v8
	s_delay_alu instid0(VALU_DEP_2) | instskip(SKIP_1) | instid1(VALU_DEP_3)
	v_mul_f32_e32 v2, 0x3fb8aa3b, v0
	v_cmp_ngt_f32_e32 vcc_lo, 0xc2ce8ed0, v0
	v_add_f32_e32 v3, v3, v7
	s_delay_alu instid0(VALU_DEP_3) | instskip(SKIP_1) | instid1(VALU_DEP_3)
	v_fma_f32 v4, 0x3fb8aa3b, v0, -v2
	v_rndne_f32_e32 v5, v2
	v_exp_f32_e32 v3, v3
	s_delay_alu instid0(VALU_DEP_2) | instskip(NEXT) | instid1(VALU_DEP_2)
	v_fmac_f32_e32 v4, 0x32a5705f, v0
	v_sub_f32_e32 v2, v2, v5
	s_delay_alu instid0(VALU_DEP_1) | instskip(SKIP_2) | instid1(VALU_DEP_3)
	v_add_f32_e32 v2, v2, v4
	v_cvt_i32_f32_e32 v4, v5
	v_cvt_i32_f32_e32 v5, v8
	v_exp_f32_e32 v2, v2
	s_delay_alu instid0(TRANS32_DEP_2) | instid1(VALU_DEP_1)
	v_ldexp_f32 v3, v3, v5
	s_waitcnt_depctr 0xfff
	v_ldexp_f32 v2, v2, v4
	s_delay_alu instid0(VALU_DEP_1) | instskip(SKIP_3) | instid1(VALU_DEP_4)
	v_cndmask_b32_e32 v2, 0, v2, vcc_lo
	v_cmp_ngt_f32_e32 vcc_lo, 0xc2ce8ed0, v1
	v_cndmask_b32_e32 v3, 0, v3, vcc_lo
	v_cmp_nlt_f32_e32 vcc_lo, 0x42b17218, v0
	v_cndmask_b32_e32 v8, 0x7f800000, v2, vcc_lo
	v_cmp_nlt_f32_e32 vcc_lo, 0x42b17218, v1
	s_delay_alu instid0(VALU_DEP_4) | instskip(NEXT) | instid1(VALU_DEP_1)
	v_cndmask_b32_e32 v7, 0x7f800000, v3, vcc_lo
	v_add_f32_e32 v2, v8, v7
	s_delay_alu instid0(VALU_DEP_1) | instskip(SKIP_1) | instid1(VALU_DEP_2)
	v_div_scale_f32 v3, null, v2, v2, 1.0
	v_div_scale_f32 v4, vcc_lo, 1.0, v2, 1.0
	v_rcp_f32_e32 v9, v3
	s_waitcnt_depctr 0xfff
	v_fma_f32 v0, -v3, v9, 1.0
	s_delay_alu instid0(VALU_DEP_1) | instskip(SKIP_1) | instid1(VALU_DEP_2)
	v_fmac_f32_e32 v9, v0, v9
	v_mul_lo_u32 v0, v6, s4
	v_mul_f32_e32 v10, v4, v9
	s_delay_alu instid0(VALU_DEP_1) | instskip(NEXT) | instid1(VALU_DEP_1)
	v_fma_f32 v1, -v3, v10, v4
	v_fmac_f32_e32 v10, v1, v9
	s_delay_alu instid0(VALU_DEP_4) | instskip(NEXT) | instid1(VALU_DEP_2)
	v_ashrrev_i32_e32 v1, 31, v0
	v_fma_f32 v3, -v3, v10, v4
	s_delay_alu instid0(VALU_DEP_2) | instskip(NEXT) | instid1(VALU_DEP_2)
	v_lshlrev_b64 v[4:5], 2, v[0:1]
	v_div_fmas_f32 v3, v3, v9, v10
	s_waitcnt lgkmcnt(0)
	s_delay_alu instid0(VALU_DEP_2) | instskip(NEXT) | instid1(VALU_DEP_3)
	v_add_co_u32 v0, vcc_lo, s12, v4
	v_add_co_ci_u32_e32 v1, vcc_lo, s13, v5, vcc_lo
	s_delay_alu instid0(VALU_DEP_3) | instskip(SKIP_2) | instid1(VALU_DEP_3)
	v_div_fixup_f32 v9, v3, v2, 1.0
	v_add_co_u32 v2, vcc_lo, s8, v4
	v_add_co_ci_u32_e32 v3, vcc_lo, s9, v5, vcc_lo
	v_mul_f32_e32 v7, v9, v7
	v_add_co_u32 v4, vcc_lo, s10, v4
	v_mul_f32_e32 v8, v9, v8
	v_add_co_ci_u32_e32 v5, vcc_lo, s11, v5, vcc_lo
	s_set_inst_prefetch_distance 0x1
	.p2align	6
.LBB3_5:                                ; =>This Inner Loop Header: Depth=1
	s_delay_alu instid0(VALU_DEP_2) | instskip(SKIP_4) | instid1(VALU_DEP_3)
	v_cmp_gt_f32_e32 vcc_lo, v7, v8
	s_add_i32 s7, s7, 1
	v_cndmask_b32_e64 v10, 0, 1, vcc_lo
	v_cndmask_b32_e32 v9, v8, v7, vcc_lo
	v_cndmask_b32_e64 v11, v7, 0xc61c4000, vcc_lo
	v_cmp_le_i32_e64 s0, s5, v10
	v_cmp_gt_i32_e64 s1, s6, v10
	v_subrev_nc_u32_e32 v10, s5, v10
	global_store_b32 v[0:1], v9, off
	v_cndmask_b32_e32 v9, 0xc61c4000, v8, vcc_lo
	s_and_b32 s0, s0, s1
	s_delay_alu instid0(SALU_CYCLE_1)
	s_and_b32 s0, s3, s0
	s_cmp_lt_i32 s7, s4
	v_cndmask_b32_e64 v10, 2, v10, s0
	s_cselect_b32 vcc_lo, -1, 0
	s_cmp_lg_u32 s4, s7
	v_dual_cndmask_b32 v8, v8, v9 :: v_dual_cndmask_b32 v7, v7, v11
	v_add_co_u32 v0, vcc_lo, v0, 4
	v_add_co_ci_u32_e32 v1, vcc_lo, 0, v1, vcc_lo
	global_store_b32 v[2:3], v10, off
	global_store_b32 v[4:5], v6, off
	v_add_co_u32 v2, vcc_lo, v2, 4
	v_add_co_ci_u32_e32 v3, vcc_lo, 0, v3, vcc_lo
	v_add_co_u32 v4, vcc_lo, v4, 4
	v_add_nc_u32_e32 v6, s2, v6
	v_add_co_ci_u32_e32 v5, vcc_lo, 0, v5, vcc_lo
	s_cbranch_scc1 .LBB3_5
.LBB3_6:
	s_set_inst_prefetch_distance 0x2
	s_nop 0
	s_sendmsg sendmsg(MSG_DEALLOC_VGPRS)
	s_endpgm
	.section	.rodata,"a",@progbits
	.p2align	6, 0x0
	.amdhsa_kernel _ZN4vllm3moe17topkGatingSoftmaxILi2ELi2ELi4ELi8ELi32EiEEvPKfPKbPfiPT4_Piiii
		.amdhsa_group_segment_fixed_size 0
		.amdhsa_private_segment_fixed_size 0
		.amdhsa_kernarg_size 60
		.amdhsa_user_sgpr_count 15
		.amdhsa_user_sgpr_dispatch_ptr 0
		.amdhsa_user_sgpr_queue_ptr 0
		.amdhsa_user_sgpr_kernarg_segment_ptr 1
		.amdhsa_user_sgpr_dispatch_id 0
		.amdhsa_user_sgpr_private_segment_size 0
		.amdhsa_wavefront_size32 1
		.amdhsa_uses_dynamic_stack 0
		.amdhsa_enable_private_segment 0
		.amdhsa_system_sgpr_workgroup_id_x 1
		.amdhsa_system_sgpr_workgroup_id_y 0
		.amdhsa_system_sgpr_workgroup_id_z 0
		.amdhsa_system_sgpr_workgroup_info 0
		.amdhsa_system_vgpr_workitem_id 1
		.amdhsa_next_free_vgpr 12
		.amdhsa_next_free_sgpr 16
		.amdhsa_reserve_vcc 1
		.amdhsa_float_round_mode_32 0
		.amdhsa_float_round_mode_16_64 0
		.amdhsa_float_denorm_mode_32 3
		.amdhsa_float_denorm_mode_16_64 3
		.amdhsa_dx10_clamp 1
		.amdhsa_ieee_mode 1
		.amdhsa_fp16_overflow 0
		.amdhsa_workgroup_processor_mode 1
		.amdhsa_memory_ordered 1
		.amdhsa_forward_progress 0
		.amdhsa_shared_vgpr_count 0
		.amdhsa_exception_fp_ieee_invalid_op 0
		.amdhsa_exception_fp_denorm_src 0
		.amdhsa_exception_fp_ieee_div_zero 0
		.amdhsa_exception_fp_ieee_overflow 0
		.amdhsa_exception_fp_ieee_underflow 0
		.amdhsa_exception_fp_ieee_inexact 0
		.amdhsa_exception_int_div_zero 0
	.end_amdhsa_kernel
	.section	.text._ZN4vllm3moe17topkGatingSoftmaxILi2ELi2ELi4ELi8ELi32EiEEvPKfPKbPfiPT4_Piiii,"axG",@progbits,_ZN4vllm3moe17topkGatingSoftmaxILi2ELi2ELi4ELi8ELi32EiEEvPKfPKbPfiPT4_Piiii,comdat
.Lfunc_end3:
	.size	_ZN4vllm3moe17topkGatingSoftmaxILi2ELi2ELi4ELi8ELi32EiEEvPKfPKbPfiPT4_Piiii, .Lfunc_end3-_ZN4vllm3moe17topkGatingSoftmaxILi2ELi2ELi4ELi8ELi32EiEEvPKfPKbPfiPT4_Piiii
                                        ; -- End function
	.section	.AMDGPU.csdata,"",@progbits
; Kernel info:
; codeLenInByte = 856
; NumSgprs: 18
; NumVgprs: 12
; ScratchSize: 0
; MemoryBound: 0
; FloatMode: 240
; IeeeMode: 1
; LDSByteSize: 0 bytes/workgroup (compile time only)
; SGPRBlocks: 2
; VGPRBlocks: 1
; NumSGPRsForWavesPerEU: 18
; NumVGPRsForWavesPerEU: 12
; Occupancy: 16
; WaveLimiterHint : 0
; COMPUTE_PGM_RSRC2:SCRATCH_EN: 0
; COMPUTE_PGM_RSRC2:USER_SGPR: 15
; COMPUTE_PGM_RSRC2:TRAP_HANDLER: 0
; COMPUTE_PGM_RSRC2:TGID_X_EN: 1
; COMPUTE_PGM_RSRC2:TGID_Y_EN: 0
; COMPUTE_PGM_RSRC2:TGID_Z_EN: 0
; COMPUTE_PGM_RSRC2:TIDIG_COMP_CNT: 1
	.section	.text._ZN4vllm3moe17topkGatingSoftmaxILi4ELi4ELi4ELi16ELi64EiEEvPKfPKbPfiPT4_Piiii,"axG",@progbits,_ZN4vllm3moe17topkGatingSoftmaxILi4ELi4ELi4ELi16ELi64EiEEvPKfPKbPfiPT4_Piiii,comdat
	.protected	_ZN4vllm3moe17topkGatingSoftmaxILi4ELi4ELi4ELi16ELi64EiEEvPKfPKbPfiPT4_Piiii ; -- Begin function _ZN4vllm3moe17topkGatingSoftmaxILi4ELi4ELi4ELi16ELi64EiEEvPKfPKbPfiPT4_Piiii
	.globl	_ZN4vllm3moe17topkGatingSoftmaxILi4ELi4ELi4ELi16ELi64EiEEvPKfPKbPfiPT4_Piiii
	.p2align	8
	.type	_ZN4vllm3moe17topkGatingSoftmaxILi4ELi4ELi4ELi16ELi64EiEEvPKfPKbPfiPT4_Piiii,@function
_ZN4vllm3moe17topkGatingSoftmaxILi4ELi4ELi4ELi16ELi64EiEEvPKfPKbPfiPT4_Piiii: ; @_ZN4vllm3moe17topkGatingSoftmaxILi4ELi4ELi4ELi16ELi64EiEEvPKfPKbPfiPT4_Piiii
; %bb.0:
	s_load_b32 s10, s[2:3], 0x18
	v_bfe_u32 v1, v0, 10, 10
	v_and_b32_e32 v2, 0x3ff, v0
	s_lshl_b32 s4, s15, 8
	s_delay_alu instid0(VALU_DEP_2) | instskip(NEXT) | instid1(VALU_DEP_1)
	v_lshlrev_b32_e32 v3, 6, v1
	v_add3_u32 v6, v3, v2, s4
	s_mov_b32 s4, exec_lo
	s_waitcnt lgkmcnt(0)
	s_delay_alu instid0(VALU_DEP_1)
	v_cmpx_gt_i32_e64 s10, v6
	s_cbranch_execz .LBB4_9
; %bb.1:
	s_clause 0x1
	s_load_b128 s[4:7], s[2:3], 0x0
	s_load_b64 s[8:9], s[2:3], 0x10
	s_waitcnt lgkmcnt(0)
	s_cmp_eq_u64 s[6:7], 0
	s_cbranch_scc1 .LBB4_3
; %bb.2:
	v_ashrrev_i32_e32 v4, 31, v6
	v_add_co_u32 v3, vcc_lo, s6, v6
	s_delay_alu instid0(VALU_DEP_2) | instskip(SKIP_3) | instid1(VALU_DEP_1)
	v_add_co_ci_u32_e32 v4, vcc_lo, s7, v4, vcc_lo
	global_load_u8 v3, v[3:4], off
	s_waitcnt vmcnt(0)
	v_and_b32_e32 v3, 1, v3
	v_cmp_eq_u32_e32 vcc_lo, 1, v3
	s_xor_b32 s6, vcc_lo, -1
	s_delay_alu instid0(SALU_CYCLE_1)
	s_or_not1_b32 s11, s6, exec_lo
	s_branch .LBB4_4
.LBB4_3:
	s_mov_b32 s11, -1
.LBB4_4:
	v_lshlrev_b32_e32 v3, 2, v6
	s_load_b64 s[0:1], s[0:1], 0x4
	v_bfe_u32 v0, v0, 20, 10
	s_delay_alu instid0(VALU_DEP_2) | instskip(NEXT) | instid1(VALU_DEP_1)
	v_ashrrev_i32_e32 v4, 31, v3
	v_lshlrev_b64 v[3:4], 2, v[3:4]
	s_delay_alu instid0(VALU_DEP_1) | instskip(NEXT) | instid1(VALU_DEP_2)
	v_add_co_u32 v3, vcc_lo, s4, v3
	v_add_co_ci_u32_e32 v4, vcc_lo, s5, v4, vcc_lo
	s_load_b128 s[4:7], s[2:3], 0x30
	s_waitcnt lgkmcnt(0)
	s_lshr_b32 s0, s0, 16
	s_delay_alu instid0(SALU_CYCLE_1) | instskip(SKIP_2) | instid1(VALU_DEP_1)
	s_mul_i32 s0, s0, s1
	global_load_b128 v[7:10], v[3:4], off
	v_mul_lo_u32 v2, s0, v2
	v_mad_u32_u24 v1, v1, s1, v2
	s_mov_b32 s1, 0
	s_cmp_lt_i32 s4, 1
	s_waitcnt vmcnt(0)
	v_dual_max_f32 v4, v7, v7 :: v_dual_max_f32 v3, v8, v8
	s_delay_alu instid0(VALU_DEP_1) | instskip(NEXT) | instid1(VALU_DEP_1)
	v_max_f32_e32 v3, v4, v3
	v_max3_f32 v3, v3, v9, v10
	s_delay_alu instid0(VALU_DEP_1) | instskip(SKIP_2) | instid1(VALU_DEP_2)
	v_sub_f32_e32 v5, v8, v3
	v_sub_f32_e32 v4, v7, v3
	;; [unrolled: 1-line block ×3, first 2 shown]
	v_dual_mul_f32 v9, 0x3fb8aa3b, v5 :: v_dual_mul_f32 v8, 0x3fb8aa3b, v4
	v_cmp_ngt_f32_e32 vcc_lo, 0xc2ce8ed0, v4
	s_delay_alu instid0(VALU_DEP_2) | instskip(NEXT) | instid1(VALU_DEP_3)
	v_rndne_f32_e32 v15, v9
	v_fma_f32 v12, 0x3fb8aa3b, v4, -v8
	v_rndne_f32_e32 v13, v8
	s_delay_alu instid0(VALU_DEP_2) | instskip(NEXT) | instid1(VALU_DEP_2)
	v_fmac_f32_e32 v12, 0x32a5705f, v4
	v_sub_f32_e32 v8, v8, v13
	v_fma_f32 v14, 0x3fb8aa3b, v5, -v9
	v_sub_f32_e32 v3, v10, v3
	v_mul_f32_e32 v10, 0x3fb8aa3b, v7
	s_delay_alu instid0(VALU_DEP_4) | instskip(NEXT) | instid1(VALU_DEP_4)
	v_dual_sub_f32 v9, v9, v15 :: v_dual_add_f32 v8, v8, v12
	v_fmac_f32_e32 v14, 0x32a5705f, v5
	v_cvt_i32_f32_e32 v12, v13
	s_delay_alu instid0(VALU_DEP_4)
	v_fma_f32 v16, 0x3fb8aa3b, v7, -v10
	v_rndne_f32_e32 v17, v10
	v_mul_f32_e32 v11, 0x3fb8aa3b, v3
	v_add_f32_e32 v9, v9, v14
	v_exp_f32_e32 v8, v8
	v_fmac_f32_e32 v16, 0x32a5705f, v7
	v_sub_f32_e32 v10, v10, v17
	v_rndne_f32_e32 v19, v11
	v_fma_f32 v18, 0x3fb8aa3b, v3, -v11
	v_exp_f32_e32 v9, v9
	v_cvt_i32_f32_e32 v13, v15
	s_delay_alu instid0(VALU_DEP_3) | instskip(SKIP_1) | instid1(TRANS32_DEP_2)
	v_dual_add_f32 v10, v10, v16 :: v_dual_sub_f32 v11, v11, v19
	v_cvt_i32_f32_e32 v14, v17
	v_ldexp_f32 v8, v8, v12
	v_cvt_i32_f32_e32 v15, v19
	s_delay_alu instid0(VALU_DEP_4) | instskip(NEXT) | instid1(TRANS32_DEP_2)
	v_exp_f32_e32 v10, v10
	v_ldexp_f32 v9, v9, v13
	s_delay_alu instid0(VALU_DEP_3) | instskip(SKIP_1) | instid1(VALU_DEP_3)
	v_cndmask_b32_e32 v8, 0, v8, vcc_lo
	v_cmp_ngt_f32_e32 vcc_lo, 0xc2ce8ed0, v5
	v_dual_fmac_f32 v18, 0x32a5705f, v3 :: v_dual_cndmask_b32 v9, 0, v9
	s_waitcnt_depctr 0xfff
	v_ldexp_f32 v10, v10, v14
	v_cmp_ngt_f32_e32 vcc_lo, 0xc2ce8ed0, v7
	s_delay_alu instid0(VALU_DEP_2) | instskip(SKIP_2) | instid1(VALU_DEP_1)
	v_cndmask_b32_e32 v10, 0, v10, vcc_lo
	v_cmp_nlt_f32_e32 vcc_lo, 0x42b17218, v4
	v_dual_add_f32 v11, v11, v18 :: v_dual_cndmask_b32 v4, 0x7f800000, v8
	v_exp_f32_e32 v11, v11
	v_cmp_nlt_f32_e32 vcc_lo, 0x42b17218, v5
	v_cndmask_b32_e32 v5, 0x7f800000, v9, vcc_lo
	v_cmp_ngt_f32_e32 vcc_lo, 0xc2ce8ed0, v3
	s_waitcnt_depctr 0xfff
	v_ldexp_f32 v11, v11, v15
	s_delay_alu instid0(VALU_DEP_1) | instskip(SKIP_4) | instid1(VALU_DEP_2)
	v_cndmask_b32_e32 v8, 0, v11, vcc_lo
	v_cmp_nlt_f32_e32 vcc_lo, 0x42b17218, v7
	v_add_f32_e32 v7, v4, v5
	v_cndmask_b32_e32 v9, 0x7f800000, v10, vcc_lo
	v_cmp_nlt_f32_e32 vcc_lo, 0x42b17218, v3
	v_add_f32_e32 v7, v7, v9
	v_cndmask_b32_e32 v3, 0x7f800000, v8, vcc_lo
	s_delay_alu instid0(VALU_DEP_1) | instskip(NEXT) | instid1(VALU_DEP_1)
	v_add_f32_e32 v7, v7, v3
	v_div_scale_f32 v8, null, v7, v7, 1.0
	v_div_scale_f32 v12, vcc_lo, 1.0, v7, 1.0
	s_delay_alu instid0(VALU_DEP_2) | instskip(SKIP_2) | instid1(VALU_DEP_1)
	v_rcp_f32_e32 v10, v8
	s_waitcnt_depctr 0xfff
	v_fma_f32 v11, -v8, v10, 1.0
	v_fmac_f32_e32 v10, v11, v10
	s_delay_alu instid0(VALU_DEP_1) | instskip(NEXT) | instid1(VALU_DEP_1)
	v_mul_f32_e32 v11, v12, v10
	v_fma_f32 v13, -v8, v11, v12
	s_delay_alu instid0(VALU_DEP_1) | instskip(NEXT) | instid1(VALU_DEP_1)
	v_fmac_f32_e32 v11, v13, v10
	v_fma_f32 v8, -v8, v11, v12
	s_delay_alu instid0(VALU_DEP_1) | instskip(NEXT) | instid1(VALU_DEP_1)
	v_div_fmas_f32 v8, v8, v10, v11
	v_div_fixup_f32 v8, v8, v7, 1.0
	v_add_lshl_u32 v7, v1, v0, 4
	s_delay_alu instid0(VALU_DEP_2)
	v_mul_f32_e32 v0, v8, v4
	v_mul_f32_e32 v2, v8, v9
	;; [unrolled: 1-line block ×4, first 2 shown]
	ds_store_b128 v7, v[0:3]
	s_cbranch_scc1 .LBB4_9
; %bb.5:
	v_mul_lo_u32 v0, v6, s4
	s_load_b128 s[12:15], s[2:3], 0x20
	v_mov_b32_e32 v8, 0xc61c4000
	s_delay_alu instid0(VALU_DEP_2) | instskip(NEXT) | instid1(VALU_DEP_1)
	v_ashrrev_i32_e32 v1, 31, v0
	v_lshlrev_b64 v[4:5], 2, v[0:1]
	s_delay_alu instid0(VALU_DEP_1) | instskip(NEXT) | instid1(VALU_DEP_2)
	v_add_co_u32 v0, vcc_lo, s8, v4
	v_add_co_ci_u32_e32 v1, vcc_lo, s9, v5, vcc_lo
	s_waitcnt lgkmcnt(0)
	v_add_co_u32 v2, vcc_lo, s12, v4
	v_add_co_ci_u32_e32 v3, vcc_lo, s13, v5, vcc_lo
	v_add_co_u32 v4, vcc_lo, s14, v4
	v_add_co_ci_u32_e32 v5, vcc_lo, s15, v5, vcc_lo
	s_set_inst_prefetch_distance 0x1
	s_branch .LBB4_7
	.p2align	6
.LBB4_6:                                ;   in Loop: Header=BB4_7 Depth=1
	v_add_co_u32 v0, vcc_lo, v0, 4
	v_add_co_ci_u32_e32 v1, vcc_lo, 0, v1, vcc_lo
	v_add_co_u32 v2, vcc_lo, v2, 4
	v_add_co_ci_u32_e32 v3, vcc_lo, 0, v3, vcc_lo
	v_add_co_u32 v4, vcc_lo, v4, 4
	v_add_nc_u32_e32 v6, s10, v6
	v_add_co_ci_u32_e32 v5, vcc_lo, 0, v5, vcc_lo
	s_cmp_lg_u32 s4, s1
	s_cbranch_scc0 .LBB4_9
.LBB4_7:                                ; =>This Inner Loop Header: Depth=1
	ds_load_b128 v[9:12], v7
	s_add_i32 s1, s1, 1
	s_waitcnt lgkmcnt(0)
	v_cmp_gt_f32_e32 vcc_lo, v10, v9
	v_cndmask_b32_e32 v9, v9, v10, vcc_lo
	v_cndmask_b32_e64 v10, 0, 1, vcc_lo
	s_delay_alu instid0(VALU_DEP_2) | instskip(SKIP_1) | instid1(VALU_DEP_3)
	v_cmp_gt_f32_e32 vcc_lo, v11, v9
	v_cndmask_b32_e32 v9, v9, v11, vcc_lo
	v_cndmask_b32_e64 v10, v10, 2, vcc_lo
	s_delay_alu instid0(VALU_DEP_2) | instskip(SKIP_1) | instid1(VALU_DEP_3)
	v_cmp_gt_f32_e32 vcc_lo, v12, v9
	v_cndmask_b32_e32 v11, v9, v12, vcc_lo
	v_cndmask_b32_e64 v9, v10, 3, vcc_lo
	global_store_b32 v[0:1], v11, off
	v_cmp_le_i32_e32 vcc_lo, s5, v9
	v_cmp_gt_i32_e64 s0, s6, v9
	v_subrev_nc_u32_e32 v10, s5, v9
	s_delay_alu instid0(VALU_DEP_2) | instskip(NEXT) | instid1(SALU_CYCLE_1)
	s_and_b32 s0, vcc_lo, s0
	s_and_b32 vcc_lo, s11, s0
	s_cmp_ge_i32 s1, s4
	s_delay_alu instid0(VALU_DEP_1)
	v_cndmask_b32_e32 v10, 4, v10, vcc_lo
	global_store_b32 v[2:3], v10, off
	global_store_b32 v[4:5], v6, off
	s_cbranch_scc1 .LBB4_6
; %bb.8:                                ;   in Loop: Header=BB4_7 Depth=1
	v_lshl_add_u32 v9, v9, 2, v7
	ds_store_b32 v9, v8
	s_branch .LBB4_6
.LBB4_9:
	s_set_inst_prefetch_distance 0x2
	s_nop 0
	s_sendmsg sendmsg(MSG_DEALLOC_VGPRS)
	s_endpgm
	.section	.rodata,"a",@progbits
	.p2align	6, 0x0
	.amdhsa_kernel _ZN4vllm3moe17topkGatingSoftmaxILi4ELi4ELi4ELi16ELi64EiEEvPKfPKbPfiPT4_Piiii
		.amdhsa_group_segment_fixed_size 4096
		.amdhsa_private_segment_fixed_size 0
		.amdhsa_kernarg_size 60
		.amdhsa_user_sgpr_count 15
		.amdhsa_user_sgpr_dispatch_ptr 1
		.amdhsa_user_sgpr_queue_ptr 0
		.amdhsa_user_sgpr_kernarg_segment_ptr 1
		.amdhsa_user_sgpr_dispatch_id 0
		.amdhsa_user_sgpr_private_segment_size 0
		.amdhsa_wavefront_size32 1
		.amdhsa_uses_dynamic_stack 0
		.amdhsa_enable_private_segment 0
		.amdhsa_system_sgpr_workgroup_id_x 1
		.amdhsa_system_sgpr_workgroup_id_y 0
		.amdhsa_system_sgpr_workgroup_id_z 0
		.amdhsa_system_sgpr_workgroup_info 0
		.amdhsa_system_vgpr_workitem_id 2
		.amdhsa_next_free_vgpr 20
		.amdhsa_next_free_sgpr 16
		.amdhsa_reserve_vcc 1
		.amdhsa_float_round_mode_32 0
		.amdhsa_float_round_mode_16_64 0
		.amdhsa_float_denorm_mode_32 3
		.amdhsa_float_denorm_mode_16_64 3
		.amdhsa_dx10_clamp 1
		.amdhsa_ieee_mode 1
		.amdhsa_fp16_overflow 0
		.amdhsa_workgroup_processor_mode 1
		.amdhsa_memory_ordered 1
		.amdhsa_forward_progress 0
		.amdhsa_shared_vgpr_count 0
		.amdhsa_exception_fp_ieee_invalid_op 0
		.amdhsa_exception_fp_denorm_src 0
		.amdhsa_exception_fp_ieee_div_zero 0
		.amdhsa_exception_fp_ieee_overflow 0
		.amdhsa_exception_fp_ieee_underflow 0
		.amdhsa_exception_fp_ieee_inexact 0
		.amdhsa_exception_int_div_zero 0
	.end_amdhsa_kernel
	.section	.text._ZN4vllm3moe17topkGatingSoftmaxILi4ELi4ELi4ELi16ELi64EiEEvPKfPKbPfiPT4_Piiii,"axG",@progbits,_ZN4vllm3moe17topkGatingSoftmaxILi4ELi4ELi4ELi16ELi64EiEEvPKfPKbPfiPT4_Piiii,comdat
.Lfunc_end4:
	.size	_ZN4vllm3moe17topkGatingSoftmaxILi4ELi4ELi4ELi16ELi64EiEEvPKfPKbPfiPT4_Piiii, .Lfunc_end4-_ZN4vllm3moe17topkGatingSoftmaxILi4ELi4ELi4ELi16ELi64EiEEvPKfPKbPfiPT4_Piiii
                                        ; -- End function
	.section	.AMDGPU.csdata,"",@progbits
; Kernel info:
; codeLenInByte = 1156
; NumSgprs: 18
; NumVgprs: 20
; ScratchSize: 0
; MemoryBound: 0
; FloatMode: 240
; IeeeMode: 1
; LDSByteSize: 4096 bytes/workgroup (compile time only)
; SGPRBlocks: 2
; VGPRBlocks: 2
; NumSGPRsForWavesPerEU: 18
; NumVGPRsForWavesPerEU: 20
; Occupancy: 16
; WaveLimiterHint : 0
; COMPUTE_PGM_RSRC2:SCRATCH_EN: 0
; COMPUTE_PGM_RSRC2:USER_SGPR: 15
; COMPUTE_PGM_RSRC2:TRAP_HANDLER: 0
; COMPUTE_PGM_RSRC2:TGID_X_EN: 1
; COMPUTE_PGM_RSRC2:TGID_Y_EN: 0
; COMPUTE_PGM_RSRC2:TGID_Z_EN: 0
; COMPUTE_PGM_RSRC2:TIDIG_COMP_CNT: 2
	.section	.text._ZN4vllm3moe17topkGatingSoftmaxILi4ELi4ELi4ELi16ELi32EiEEvPKfPKbPfiPT4_Piiii,"axG",@progbits,_ZN4vllm3moe17topkGatingSoftmaxILi4ELi4ELi4ELi16ELi32EiEEvPKfPKbPfiPT4_Piiii,comdat
	.protected	_ZN4vllm3moe17topkGatingSoftmaxILi4ELi4ELi4ELi16ELi32EiEEvPKfPKbPfiPT4_Piiii ; -- Begin function _ZN4vllm3moe17topkGatingSoftmaxILi4ELi4ELi4ELi16ELi32EiEEvPKfPKbPfiPT4_Piiii
	.globl	_ZN4vllm3moe17topkGatingSoftmaxILi4ELi4ELi4ELi16ELi32EiEEvPKfPKbPfiPT4_Piiii
	.p2align	8
	.type	_ZN4vllm3moe17topkGatingSoftmaxILi4ELi4ELi4ELi16ELi32EiEEvPKfPKbPfiPT4_Piiii,@function
_ZN4vllm3moe17topkGatingSoftmaxILi4ELi4ELi4ELi16ELi32EiEEvPKfPKbPfiPT4_Piiii: ; @_ZN4vllm3moe17topkGatingSoftmaxILi4ELi4ELi4ELi16ELi32EiEEvPKfPKbPfiPT4_Piiii
; %bb.0:
	s_load_b32 s10, s[2:3], 0x18
	v_bfe_u32 v2, v0, 10, 10
	v_and_b32_e32 v1, 0x3ff, v0
	s_lshl_b32 s4, s15, 7
	s_delay_alu instid0(VALU_DEP_2) | instskip(NEXT) | instid1(VALU_DEP_1)
	v_lshlrev_b32_e32 v3, 5, v2
	v_add3_u32 v6, v3, v1, s4
	s_mov_b32 s4, exec_lo
	s_waitcnt lgkmcnt(0)
	s_delay_alu instid0(VALU_DEP_1)
	v_cmpx_gt_i32_e64 s10, v6
	s_cbranch_execz .LBB5_9
; %bb.1:
	s_clause 0x1
	s_load_b128 s[4:7], s[2:3], 0x0
	s_load_b64 s[8:9], s[2:3], 0x10
	s_waitcnt lgkmcnt(0)
	s_cmp_eq_u64 s[6:7], 0
	s_cbranch_scc1 .LBB5_3
; %bb.2:
	v_ashrrev_i32_e32 v4, 31, v6
	v_add_co_u32 v3, vcc_lo, s6, v6
	s_delay_alu instid0(VALU_DEP_2) | instskip(SKIP_3) | instid1(VALU_DEP_1)
	v_add_co_ci_u32_e32 v4, vcc_lo, s7, v4, vcc_lo
	global_load_u8 v3, v[3:4], off
	s_waitcnt vmcnt(0)
	v_and_b32_e32 v3, 1, v3
	v_cmp_eq_u32_e32 vcc_lo, 1, v3
	s_xor_b32 s6, vcc_lo, -1
	s_delay_alu instid0(SALU_CYCLE_1)
	s_or_not1_b32 s11, s6, exec_lo
	s_branch .LBB5_4
.LBB5_3:
	s_mov_b32 s11, -1
.LBB5_4:
	v_lshlrev_b32_e32 v3, 2, v6
	s_load_b64 s[0:1], s[0:1], 0x4
	v_bfe_u32 v0, v0, 20, 10
	s_delay_alu instid0(VALU_DEP_2) | instskip(NEXT) | instid1(VALU_DEP_1)
	v_ashrrev_i32_e32 v4, 31, v3
	v_lshlrev_b64 v[3:4], 2, v[3:4]
	s_delay_alu instid0(VALU_DEP_1) | instskip(NEXT) | instid1(VALU_DEP_2)
	v_add_co_u32 v3, vcc_lo, s4, v3
	v_add_co_ci_u32_e32 v4, vcc_lo, s5, v4, vcc_lo
	s_load_b128 s[4:7], s[2:3], 0x30
	s_waitcnt lgkmcnt(0)
	v_mul_u32_u24_e32 v2, s1, v2
	s_lshr_b32 s0, s0, 16
	global_load_b128 v[7:10], v[3:4], off
	s_mul_i32 s0, s0, s1
	s_mov_b32 s1, 0
	v_mad_u32_u24 v1, s0, v1, v2
	s_cmp_lt_i32 s4, 1
	s_waitcnt vmcnt(0)
	v_dual_max_f32 v4, v7, v7 :: v_dual_max_f32 v3, v8, v8
	s_delay_alu instid0(VALU_DEP_1) | instskip(NEXT) | instid1(VALU_DEP_1)
	v_max_f32_e32 v3, v4, v3
	v_max3_f32 v3, v3, v9, v10
	s_delay_alu instid0(VALU_DEP_1) | instskip(SKIP_2) | instid1(VALU_DEP_2)
	v_sub_f32_e32 v5, v8, v3
	v_sub_f32_e32 v4, v7, v3
	;; [unrolled: 1-line block ×3, first 2 shown]
	v_dual_mul_f32 v9, 0x3fb8aa3b, v5 :: v_dual_mul_f32 v8, 0x3fb8aa3b, v4
	v_cmp_ngt_f32_e32 vcc_lo, 0xc2ce8ed0, v4
	s_delay_alu instid0(VALU_DEP_2) | instskip(NEXT) | instid1(VALU_DEP_3)
	v_rndne_f32_e32 v15, v9
	v_fma_f32 v12, 0x3fb8aa3b, v4, -v8
	v_rndne_f32_e32 v13, v8
	s_delay_alu instid0(VALU_DEP_2) | instskip(NEXT) | instid1(VALU_DEP_2)
	v_fmac_f32_e32 v12, 0x32a5705f, v4
	v_sub_f32_e32 v8, v8, v13
	v_fma_f32 v14, 0x3fb8aa3b, v5, -v9
	v_sub_f32_e32 v3, v10, v3
	v_mul_f32_e32 v10, 0x3fb8aa3b, v7
	s_delay_alu instid0(VALU_DEP_4) | instskip(NEXT) | instid1(VALU_DEP_4)
	v_dual_sub_f32 v9, v9, v15 :: v_dual_add_f32 v8, v8, v12
	v_fmac_f32_e32 v14, 0x32a5705f, v5
	v_cvt_i32_f32_e32 v12, v13
	s_delay_alu instid0(VALU_DEP_4)
	v_fma_f32 v16, 0x3fb8aa3b, v7, -v10
	v_rndne_f32_e32 v17, v10
	v_mul_f32_e32 v11, 0x3fb8aa3b, v3
	v_add_f32_e32 v9, v9, v14
	v_exp_f32_e32 v8, v8
	v_fmac_f32_e32 v16, 0x32a5705f, v7
	v_sub_f32_e32 v10, v10, v17
	v_rndne_f32_e32 v19, v11
	v_fma_f32 v18, 0x3fb8aa3b, v3, -v11
	v_exp_f32_e32 v9, v9
	v_cvt_i32_f32_e32 v13, v15
	s_delay_alu instid0(VALU_DEP_3) | instskip(SKIP_1) | instid1(TRANS32_DEP_2)
	v_dual_add_f32 v10, v10, v16 :: v_dual_sub_f32 v11, v11, v19
	v_cvt_i32_f32_e32 v14, v17
	v_ldexp_f32 v8, v8, v12
	v_cvt_i32_f32_e32 v15, v19
	s_delay_alu instid0(VALU_DEP_4) | instskip(NEXT) | instid1(TRANS32_DEP_2)
	v_exp_f32_e32 v10, v10
	v_ldexp_f32 v9, v9, v13
	s_delay_alu instid0(VALU_DEP_3) | instskip(SKIP_1) | instid1(VALU_DEP_3)
	v_cndmask_b32_e32 v8, 0, v8, vcc_lo
	v_cmp_ngt_f32_e32 vcc_lo, 0xc2ce8ed0, v5
	v_dual_fmac_f32 v18, 0x32a5705f, v3 :: v_dual_cndmask_b32 v9, 0, v9
	s_waitcnt_depctr 0xfff
	v_ldexp_f32 v10, v10, v14
	v_cmp_ngt_f32_e32 vcc_lo, 0xc2ce8ed0, v7
	s_delay_alu instid0(VALU_DEP_2) | instskip(SKIP_2) | instid1(VALU_DEP_1)
	v_cndmask_b32_e32 v10, 0, v10, vcc_lo
	v_cmp_nlt_f32_e32 vcc_lo, 0x42b17218, v4
	v_dual_add_f32 v11, v11, v18 :: v_dual_cndmask_b32 v4, 0x7f800000, v8
	v_exp_f32_e32 v11, v11
	v_cmp_nlt_f32_e32 vcc_lo, 0x42b17218, v5
	v_cndmask_b32_e32 v5, 0x7f800000, v9, vcc_lo
	v_cmp_ngt_f32_e32 vcc_lo, 0xc2ce8ed0, v3
	s_waitcnt_depctr 0xfff
	v_ldexp_f32 v11, v11, v15
	s_delay_alu instid0(VALU_DEP_1) | instskip(SKIP_4) | instid1(VALU_DEP_2)
	v_cndmask_b32_e32 v8, 0, v11, vcc_lo
	v_cmp_nlt_f32_e32 vcc_lo, 0x42b17218, v7
	v_add_f32_e32 v7, v4, v5
	v_cndmask_b32_e32 v9, 0x7f800000, v10, vcc_lo
	v_cmp_nlt_f32_e32 vcc_lo, 0x42b17218, v3
	v_add_f32_e32 v7, v7, v9
	v_cndmask_b32_e32 v3, 0x7f800000, v8, vcc_lo
	s_delay_alu instid0(VALU_DEP_1) | instskip(NEXT) | instid1(VALU_DEP_1)
	v_add_f32_e32 v7, v7, v3
	v_div_scale_f32 v8, null, v7, v7, 1.0
	v_div_scale_f32 v12, vcc_lo, 1.0, v7, 1.0
	s_delay_alu instid0(VALU_DEP_2) | instskip(SKIP_2) | instid1(VALU_DEP_1)
	v_rcp_f32_e32 v10, v8
	s_waitcnt_depctr 0xfff
	v_fma_f32 v11, -v8, v10, 1.0
	v_fmac_f32_e32 v10, v11, v10
	s_delay_alu instid0(VALU_DEP_1) | instskip(NEXT) | instid1(VALU_DEP_1)
	v_mul_f32_e32 v11, v12, v10
	v_fma_f32 v13, -v8, v11, v12
	s_delay_alu instid0(VALU_DEP_1) | instskip(NEXT) | instid1(VALU_DEP_1)
	v_fmac_f32_e32 v11, v13, v10
	v_fma_f32 v8, -v8, v11, v12
	s_delay_alu instid0(VALU_DEP_1) | instskip(NEXT) | instid1(VALU_DEP_1)
	v_div_fmas_f32 v8, v8, v10, v11
	v_div_fixup_f32 v8, v8, v7, 1.0
	v_add_lshl_u32 v7, v1, v0, 4
	s_delay_alu instid0(VALU_DEP_2)
	v_mul_f32_e32 v0, v8, v4
	v_mul_f32_e32 v2, v8, v9
	;; [unrolled: 1-line block ×4, first 2 shown]
	ds_store_b128 v7, v[0:3]
	s_cbranch_scc1 .LBB5_9
; %bb.5:
	v_mul_lo_u32 v0, v6, s4
	s_load_b128 s[12:15], s[2:3], 0x20
	v_mov_b32_e32 v8, 0xc61c4000
	s_delay_alu instid0(VALU_DEP_2) | instskip(NEXT) | instid1(VALU_DEP_1)
	v_ashrrev_i32_e32 v1, 31, v0
	v_lshlrev_b64 v[4:5], 2, v[0:1]
	s_delay_alu instid0(VALU_DEP_1) | instskip(NEXT) | instid1(VALU_DEP_2)
	v_add_co_u32 v0, vcc_lo, s8, v4
	v_add_co_ci_u32_e32 v1, vcc_lo, s9, v5, vcc_lo
	s_waitcnt lgkmcnt(0)
	v_add_co_u32 v2, vcc_lo, s12, v4
	v_add_co_ci_u32_e32 v3, vcc_lo, s13, v5, vcc_lo
	v_add_co_u32 v4, vcc_lo, s14, v4
	v_add_co_ci_u32_e32 v5, vcc_lo, s15, v5, vcc_lo
	s_set_inst_prefetch_distance 0x1
	s_branch .LBB5_7
	.p2align	6
.LBB5_6:                                ;   in Loop: Header=BB5_7 Depth=1
	v_add_co_u32 v0, vcc_lo, v0, 4
	v_add_co_ci_u32_e32 v1, vcc_lo, 0, v1, vcc_lo
	v_add_co_u32 v2, vcc_lo, v2, 4
	v_add_co_ci_u32_e32 v3, vcc_lo, 0, v3, vcc_lo
	v_add_co_u32 v4, vcc_lo, v4, 4
	v_add_nc_u32_e32 v6, s10, v6
	v_add_co_ci_u32_e32 v5, vcc_lo, 0, v5, vcc_lo
	s_cmp_lg_u32 s4, s1
	s_cbranch_scc0 .LBB5_9
.LBB5_7:                                ; =>This Inner Loop Header: Depth=1
	ds_load_b128 v[9:12], v7
	s_add_i32 s1, s1, 1
	s_waitcnt lgkmcnt(0)
	v_cmp_gt_f32_e32 vcc_lo, v10, v9
	v_cndmask_b32_e32 v9, v9, v10, vcc_lo
	v_cndmask_b32_e64 v10, 0, 1, vcc_lo
	s_delay_alu instid0(VALU_DEP_2) | instskip(SKIP_1) | instid1(VALU_DEP_3)
	v_cmp_gt_f32_e32 vcc_lo, v11, v9
	v_cndmask_b32_e32 v9, v9, v11, vcc_lo
	v_cndmask_b32_e64 v10, v10, 2, vcc_lo
	s_delay_alu instid0(VALU_DEP_2) | instskip(SKIP_1) | instid1(VALU_DEP_3)
	v_cmp_gt_f32_e32 vcc_lo, v12, v9
	v_cndmask_b32_e32 v11, v9, v12, vcc_lo
	v_cndmask_b32_e64 v9, v10, 3, vcc_lo
	global_store_b32 v[0:1], v11, off
	v_cmp_le_i32_e32 vcc_lo, s5, v9
	v_cmp_gt_i32_e64 s0, s6, v9
	v_subrev_nc_u32_e32 v10, s5, v9
	s_delay_alu instid0(VALU_DEP_2) | instskip(NEXT) | instid1(SALU_CYCLE_1)
	s_and_b32 s0, vcc_lo, s0
	s_and_b32 vcc_lo, s11, s0
	s_cmp_ge_i32 s1, s4
	s_delay_alu instid0(VALU_DEP_1)
	v_cndmask_b32_e32 v10, 4, v10, vcc_lo
	global_store_b32 v[2:3], v10, off
	global_store_b32 v[4:5], v6, off
	s_cbranch_scc1 .LBB5_6
; %bb.8:                                ;   in Loop: Header=BB5_7 Depth=1
	v_lshl_add_u32 v9, v9, 2, v7
	ds_store_b32 v9, v8
	s_branch .LBB5_6
.LBB5_9:
	s_set_inst_prefetch_distance 0x2
	s_nop 0
	s_sendmsg sendmsg(MSG_DEALLOC_VGPRS)
	s_endpgm
	.section	.rodata,"a",@progbits
	.p2align	6, 0x0
	.amdhsa_kernel _ZN4vllm3moe17topkGatingSoftmaxILi4ELi4ELi4ELi16ELi32EiEEvPKfPKbPfiPT4_Piiii
		.amdhsa_group_segment_fixed_size 2048
		.amdhsa_private_segment_fixed_size 0
		.amdhsa_kernarg_size 60
		.amdhsa_user_sgpr_count 15
		.amdhsa_user_sgpr_dispatch_ptr 1
		.amdhsa_user_sgpr_queue_ptr 0
		.amdhsa_user_sgpr_kernarg_segment_ptr 1
		.amdhsa_user_sgpr_dispatch_id 0
		.amdhsa_user_sgpr_private_segment_size 0
		.amdhsa_wavefront_size32 1
		.amdhsa_uses_dynamic_stack 0
		.amdhsa_enable_private_segment 0
		.amdhsa_system_sgpr_workgroup_id_x 1
		.amdhsa_system_sgpr_workgroup_id_y 0
		.amdhsa_system_sgpr_workgroup_id_z 0
		.amdhsa_system_sgpr_workgroup_info 0
		.amdhsa_system_vgpr_workitem_id 2
		.amdhsa_next_free_vgpr 20
		.amdhsa_next_free_sgpr 16
		.amdhsa_reserve_vcc 1
		.amdhsa_float_round_mode_32 0
		.amdhsa_float_round_mode_16_64 0
		.amdhsa_float_denorm_mode_32 3
		.amdhsa_float_denorm_mode_16_64 3
		.amdhsa_dx10_clamp 1
		.amdhsa_ieee_mode 1
		.amdhsa_fp16_overflow 0
		.amdhsa_workgroup_processor_mode 1
		.amdhsa_memory_ordered 1
		.amdhsa_forward_progress 0
		.amdhsa_shared_vgpr_count 0
		.amdhsa_exception_fp_ieee_invalid_op 0
		.amdhsa_exception_fp_denorm_src 0
		.amdhsa_exception_fp_ieee_div_zero 0
		.amdhsa_exception_fp_ieee_overflow 0
		.amdhsa_exception_fp_ieee_underflow 0
		.amdhsa_exception_fp_ieee_inexact 0
		.amdhsa_exception_int_div_zero 0
	.end_amdhsa_kernel
	.section	.text._ZN4vllm3moe17topkGatingSoftmaxILi4ELi4ELi4ELi16ELi32EiEEvPKfPKbPfiPT4_Piiii,"axG",@progbits,_ZN4vllm3moe17topkGatingSoftmaxILi4ELi4ELi4ELi16ELi32EiEEvPKfPKbPfiPT4_Piiii,comdat
.Lfunc_end5:
	.size	_ZN4vllm3moe17topkGatingSoftmaxILi4ELi4ELi4ELi16ELi32EiEEvPKfPKbPfiPT4_Piiii, .Lfunc_end5-_ZN4vllm3moe17topkGatingSoftmaxILi4ELi4ELi4ELi16ELi32EiEEvPKfPKbPfiPT4_Piiii
                                        ; -- End function
	.section	.AMDGPU.csdata,"",@progbits
; Kernel info:
; codeLenInByte = 1148
; NumSgprs: 18
; NumVgprs: 20
; ScratchSize: 0
; MemoryBound: 0
; FloatMode: 240
; IeeeMode: 1
; LDSByteSize: 2048 bytes/workgroup (compile time only)
; SGPRBlocks: 2
; VGPRBlocks: 2
; NumSGPRsForWavesPerEU: 18
; NumVGPRsForWavesPerEU: 20
; Occupancy: 16
; WaveLimiterHint : 0
; COMPUTE_PGM_RSRC2:SCRATCH_EN: 0
; COMPUTE_PGM_RSRC2:USER_SGPR: 15
; COMPUTE_PGM_RSRC2:TRAP_HANDLER: 0
; COMPUTE_PGM_RSRC2:TGID_X_EN: 1
; COMPUTE_PGM_RSRC2:TGID_Y_EN: 0
; COMPUTE_PGM_RSRC2:TGID_Z_EN: 0
; COMPUTE_PGM_RSRC2:TIDIG_COMP_CNT: 2
	.section	.text._ZN4vllm3moe17topkGatingSoftmaxILi4ELi8ELi4ELi16ELi64EiEEvPKfPKbPfiPT4_Piiii,"axG",@progbits,_ZN4vllm3moe17topkGatingSoftmaxILi4ELi8ELi4ELi16ELi64EiEEvPKfPKbPfiPT4_Piiii,comdat
	.protected	_ZN4vllm3moe17topkGatingSoftmaxILi4ELi8ELi4ELi16ELi64EiEEvPKfPKbPfiPT4_Piiii ; -- Begin function _ZN4vllm3moe17topkGatingSoftmaxILi4ELi8ELi4ELi16ELi64EiEEvPKfPKbPfiPT4_Piiii
	.globl	_ZN4vllm3moe17topkGatingSoftmaxILi4ELi8ELi4ELi16ELi64EiEEvPKfPKbPfiPT4_Piiii
	.p2align	8
	.type	_ZN4vllm3moe17topkGatingSoftmaxILi4ELi8ELi4ELi16ELi64EiEEvPKfPKbPfiPT4_Piiii,@function
_ZN4vllm3moe17topkGatingSoftmaxILi4ELi8ELi4ELi16ELi64EiEEvPKfPKbPfiPT4_Piiii: ; @_ZN4vllm3moe17topkGatingSoftmaxILi4ELi8ELi4ELi16ELi64EiEEvPKfPKbPfiPT4_Piiii
; %bb.0:
	s_load_b32 s14, s[2:3], 0x18
	v_bfe_u32 v4, v0, 10, 10
	v_and_b32_e32 v5, 0x3ff, v0
	s_lshl_b32 s4, s15, 7
	s_delay_alu instid0(VALU_DEP_2) | instskip(NEXT) | instid1(VALU_DEP_2)
	v_lshlrev_b32_e32 v1, 5, v4
	v_lshrrev_b32_e32 v2, 1, v5
	s_delay_alu instid0(VALU_DEP_1) | instskip(SKIP_2) | instid1(VALU_DEP_1)
	v_add3_u32 v1, s4, v1, v2
	s_mov_b32 s4, exec_lo
	s_waitcnt lgkmcnt(0)
	v_cmpx_gt_i32_e64 s14, v1
	s_cbranch_execz .LBB6_14
; %bb.1:
	s_clause 0x1
	s_load_b128 s[4:7], s[2:3], 0x0
	s_load_b64 s[12:13], s[2:3], 0x10
	s_mov_b32 s15, -1
	s_waitcnt lgkmcnt(0)
	s_cmp_eq_u64 s[6:7], 0
	s_cbranch_scc1 .LBB6_3
; %bb.2:
	v_ashrrev_i32_e32 v3, 31, v1
	v_add_co_u32 v2, vcc_lo, s6, v1
	s_delay_alu instid0(VALU_DEP_2) | instskip(SKIP_3) | instid1(VALU_DEP_1)
	v_add_co_ci_u32_e32 v3, vcc_lo, s7, v3, vcc_lo
	global_load_u8 v2, v[2:3], off
	s_waitcnt vmcnt(0)
	v_and_b32_e32 v2, 1, v2
	v_cmp_eq_u32_e32 vcc_lo, 1, v2
	s_xor_b32 s6, vcc_lo, -1
	s_delay_alu instid0(SALU_CYCLE_1)
	s_or_not1_b32 s15, s6, exec_lo
.LBB6_3:
	v_lshlrev_b32_e32 v6, 3, v1
	v_and_b32_e32 v2, 1, v5
	s_load_b64 s[0:1], s[0:1], 0x4
	v_bfe_u32 v0, v0, 20, 10
	s_delay_alu instid0(VALU_DEP_3) | instskip(NEXT) | instid1(VALU_DEP_3)
	v_ashrrev_i32_e32 v7, 31, v6
	v_lshlrev_b32_e32 v3, 4, v2
	s_delay_alu instid0(VALU_DEP_2) | instskip(NEXT) | instid1(VALU_DEP_1)
	v_lshlrev_b64 v[6:7], 2, v[6:7]
	v_add_co_u32 v6, vcc_lo, s4, v6
	s_delay_alu instid0(VALU_DEP_2) | instskip(SKIP_1) | instid1(VALU_DEP_2)
	v_add_co_ci_u32_e32 v7, vcc_lo, s5, v7, vcc_lo
	s_load_b128 s[4:7], s[2:3], 0x30
	v_add_co_u32 v6, vcc_lo, v6, v3
	s_delay_alu instid0(VALU_DEP_2)
	v_add_co_ci_u32_e32 v7, vcc_lo, 0, v7, vcc_lo
	v_mbcnt_lo_u32_b32 v3, -1, 0
	s_waitcnt lgkmcnt(0)
	s_lshr_b32 s0, s0, 16
	s_mov_b32 s7, 0
	global_load_b128 v[6:9], v[6:7], off
	s_mul_i32 s0, s0, s1
	v_and_b32_e32 v10, 30, v3
	v_xor_b32_e32 v11, 1, v3
	v_mul_lo_u32 v5, s0, v5
	s_delay_alu instid0(VALU_DEP_3) | instskip(NEXT) | instid1(VALU_DEP_1)
	v_add_nc_u32_e32 v10, 2, v10
	v_cmp_lt_i32_e32 vcc_lo, v11, v10
	s_delay_alu instid0(VALU_DEP_3) | instskip(SKIP_2) | instid1(VALU_DEP_2)
	v_mad_u32_u24 v4, v4, s1, v5
	s_cmp_lt_i32 s4, 1
	v_cndmask_b32_e32 v3, v3, v11, vcc_lo
	v_add_lshl_u32 v0, v4, v0, 4
	s_delay_alu instid0(VALU_DEP_2) | instskip(SKIP_2) | instid1(VALU_DEP_1)
	v_lshlrev_b32_e32 v3, 2, v3
	s_waitcnt vmcnt(0)
	v_dual_max_f32 v12, v7, v7 :: v_dual_max_f32 v13, v6, v6
	v_max_f32_e32 v10, v13, v12
	s_delay_alu instid0(VALU_DEP_1) | instskip(SKIP_3) | instid1(VALU_DEP_1)
	v_max3_f32 v10, v10, v8, v9
	ds_bpermute_b32 v11, v3, v10
	s_waitcnt lgkmcnt(0)
	v_max_f32_e32 v11, v11, v11
	v_max_f32_e32 v10, v10, v11
	s_delay_alu instid0(VALU_DEP_1) | instskip(NEXT) | instid1(VALU_DEP_1)
	v_sub_f32_e32 v7, v7, v10
	v_mul_f32_e32 v11, 0x3fb8aa3b, v7
	s_delay_alu instid0(VALU_DEP_1) | instskip(SKIP_1) | instid1(VALU_DEP_2)
	v_rndne_f32_e32 v17, v11
	v_fma_f32 v16, 0x3fb8aa3b, v7, -v11
	v_sub_f32_e32 v11, v11, v17
	v_sub_f32_e32 v9, v9, v10
	s_delay_alu instid0(VALU_DEP_1) | instskip(NEXT) | instid1(VALU_DEP_1)
	v_dual_sub_f32 v8, v8, v10 :: v_dual_mul_f32 v13, 0x3fb8aa3b, v9
	v_mul_f32_e32 v12, 0x3fb8aa3b, v8
	v_fmac_f32_e32 v16, 0x32a5705f, v7
	s_delay_alu instid0(VALU_DEP_3) | instskip(SKIP_2) | instid1(VALU_DEP_4)
	v_rndne_f32_e32 v21, v13
	v_sub_f32_e32 v6, v6, v10
	v_fma_f32 v20, 0x3fb8aa3b, v9, -v13
	v_add_f32_e32 v11, v11, v16
	v_fma_f32 v18, 0x3fb8aa3b, v8, -v12
	s_delay_alu instid0(VALU_DEP_4) | instskip(SKIP_1) | instid1(VALU_DEP_4)
	v_dual_sub_f32 v13, v13, v21 :: v_dual_mul_f32 v10, 0x3fb8aa3b, v6
	v_rndne_f32_e32 v19, v12
	v_exp_f32_e32 v11, v11
	v_cmp_ngt_f32_e32 vcc_lo, 0xc2ce8ed0, v6
	v_fmac_f32_e32 v18, 0x32a5705f, v8
	v_fma_f32 v14, 0x3fb8aa3b, v6, -v10
	v_rndne_f32_e32 v15, v10
	v_sub_f32_e32 v12, v12, v19
	v_cvt_i32_f32_e32 v16, v19
	s_delay_alu instid0(VALU_DEP_4) | instskip(NEXT) | instid1(VALU_DEP_4)
	v_fmac_f32_e32 v14, 0x32a5705f, v6
	v_sub_f32_e32 v10, v10, v15
	v_fmac_f32_e32 v20, 0x32a5705f, v9
	s_delay_alu instid0(VALU_DEP_2) | instskip(SKIP_2) | instid1(VALU_DEP_4)
	v_add_f32_e32 v10, v10, v14
	v_cvt_i32_f32_e32 v14, v15
	v_cvt_i32_f32_e32 v15, v17
	v_add_f32_e32 v13, v13, v20
	v_cvt_i32_f32_e32 v17, v21
	v_exp_f32_e32 v10, v10
	s_delay_alu instid0(VALU_DEP_3) | instskip(NEXT) | instid1(VALU_DEP_3)
	v_ldexp_f32 v11, v11, v15
	v_exp_f32_e32 v13, v13
	s_waitcnt_depctr 0xfff
	v_ldexp_f32 v10, v10, v14
	v_ldexp_f32 v13, v13, v17
	s_delay_alu instid0(VALU_DEP_2) | instskip(SKIP_3) | instid1(VALU_DEP_2)
	v_cndmask_b32_e32 v10, 0, v10, vcc_lo
	v_cmp_ngt_f32_e32 vcc_lo, 0xc2ce8ed0, v7
	v_dual_cndmask_b32 v11, 0, v11 :: v_dual_add_f32 v12, v12, v18
	v_cmp_ngt_f32_e32 vcc_lo, 0xc2ce8ed0, v8
	v_exp_f32_e32 v12, v12
	s_waitcnt_depctr 0xfff
	v_ldexp_f32 v12, v12, v16
	s_delay_alu instid0(VALU_DEP_1)
	v_cndmask_b32_e32 v12, 0, v12, vcc_lo
	v_cmp_nlt_f32_e32 vcc_lo, 0x42b17218, v6
	v_cndmask_b32_e32 v6, 0x7f800000, v10, vcc_lo
	v_cmp_nlt_f32_e32 vcc_lo, 0x42b17218, v7
	v_cndmask_b32_e32 v7, 0x7f800000, v11, vcc_lo
	v_cmp_ngt_f32_e32 vcc_lo, 0xc2ce8ed0, v9
	s_delay_alu instid0(VALU_DEP_2) | instskip(SKIP_3) | instid1(VALU_DEP_2)
	v_dual_add_f32 v11, v6, v7 :: v_dual_cndmask_b32 v10, 0, v13
	v_cmp_nlt_f32_e32 vcc_lo, 0x42b17218, v8
	v_cndmask_b32_e32 v8, 0x7f800000, v12, vcc_lo
	v_cmp_nlt_f32_e32 vcc_lo, 0x42b17218, v9
	v_dual_cndmask_b32 v9, 0x7f800000, v10 :: v_dual_add_f32 v10, v11, v8
	s_delay_alu instid0(VALU_DEP_1) | instskip(SKIP_3) | instid1(VALU_DEP_1)
	v_add_f32_e32 v10, v10, v9
	ds_bpermute_b32 v11, v3, v10
	s_waitcnt lgkmcnt(0)
	v_add_f32_e32 v10, v10, v11
	v_div_scale_f32 v11, null, v10, v10, 1.0
	v_div_scale_f32 v14, vcc_lo, 1.0, v10, 1.0
	s_delay_alu instid0(VALU_DEP_2) | instskip(SKIP_2) | instid1(VALU_DEP_1)
	v_rcp_f32_e32 v12, v11
	s_waitcnt_depctr 0xfff
	v_fma_f32 v13, -v11, v12, 1.0
	v_fmac_f32_e32 v12, v13, v12
	s_delay_alu instid0(VALU_DEP_1) | instskip(NEXT) | instid1(VALU_DEP_1)
	v_mul_f32_e32 v13, v14, v12
	v_fma_f32 v15, -v11, v13, v14
	s_delay_alu instid0(VALU_DEP_1) | instskip(NEXT) | instid1(VALU_DEP_1)
	v_fmac_f32_e32 v13, v15, v12
	v_fma_f32 v11, -v11, v13, v14
	s_delay_alu instid0(VALU_DEP_1) | instskip(NEXT) | instid1(VALU_DEP_1)
	v_div_fmas_f32 v11, v11, v12, v13
	v_div_fixup_f32 v10, v11, v10, 1.0
	s_delay_alu instid0(VALU_DEP_1)
	v_mul_f32_e32 v5, v10, v7
	v_mul_f32_e32 v7, v10, v9
	;; [unrolled: 1-line block ×4, first 2 shown]
	ds_store_b128 v0, v[4:7]
	s_cbranch_scc1 .LBB6_14
; %bb.4:
	s_load_b128 s[8:11], s[2:3], 0x20
	v_mul_lo_u32 v4, v1, s4
	v_dual_mov_b32 v6, 0xc61c4000 :: v_dual_lshlrev_b32 v5, 2, v2
	v_cmp_eq_u32_e32 vcc_lo, 0, v2
	s_branch .LBB6_6
.LBB6_5:                                ;   in Loop: Header=BB6_6 Depth=1
	s_or_b32 exec_lo, exec_lo, s0
	v_add_nc_u32_e32 v1, s14, v1
	s_cmp_lg_u32 s4, s7
	s_cbranch_scc0 .LBB6_14
.LBB6_6:                                ; =>This Inner Loop Header: Depth=1
	ds_load_b128 v[7:10], v0
	s_mov_b32 s3, exec_lo
	s_waitcnt lgkmcnt(0)
	v_cmp_gt_f32_e64 s0, v8, v7
	s_delay_alu instid0(VALU_DEP_1) | instskip(SKIP_1) | instid1(VALU_DEP_2)
	v_cndmask_b32_e64 v7, v7, v8, s0
	v_cndmask_b32_e64 v8, 0, 1, s0
	v_cmp_gt_f32_e64 s0, v9, v7
	s_delay_alu instid0(VALU_DEP_1) | instskip(NEXT) | instid1(VALU_DEP_3)
	v_cndmask_b32_e64 v7, v7, v9, s0
	v_cndmask_b32_e64 v9, v8, 2, s0
	s_delay_alu instid0(VALU_DEP_2) | instskip(NEXT) | instid1(VALU_DEP_1)
	v_cmp_gt_f32_e64 s0, v10, v7
	v_cndmask_b32_e64 v8, v7, v10, s0
	s_delay_alu instid0(VALU_DEP_3)
	v_cndmask_b32_e64 v7, v9, 3, s0
	ds_bpermute_b32 v9, v3, v8
	v_or_b32_e32 v7, v5, v7
	ds_bpermute_b32 v10, v3, v7
	s_waitcnt lgkmcnt(1)
	v_cmp_lt_f32_e64 s2, v8, v9
	v_cmpx_nlt_f32_e32 v8, v9
	s_cbranch_execnz .LBB6_12
; %bb.7:                                ;   in Loop: Header=BB6_6 Depth=1
	s_or_b32 exec_lo, exec_lo, s3
	s_delay_alu instid0(VALU_DEP_2)
	s_and_saveexec_b32 s0, s2
	s_cbranch_execnz .LBB6_13
.LBB6_8:                                ;   in Loop: Header=BB6_6 Depth=1
	s_or_b32 exec_lo, exec_lo, s0
	s_and_saveexec_b32 s2, vcc_lo
	s_cbranch_execz .LBB6_10
.LBB6_9:                                ;   in Loop: Header=BB6_6 Depth=1
	v_add_nc_u32_e32 v9, s7, v4
	v_cmp_le_i32_e64 s0, s5, v7
	v_cmp_gt_i32_e64 s1, s6, v7
	v_subrev_nc_u32_e32 v11, s5, v7
	s_waitcnt lgkmcnt(0)
	v_ashrrev_i32_e32 v10, 31, v9
	s_delay_alu instid0(VALU_DEP_3) | instskip(NEXT) | instid1(SALU_CYCLE_1)
	s_and_b32 s0, s0, s1
	s_and_b32 s0, s15, s0
	s_delay_alu instid0(VALU_DEP_1) | instskip(SKIP_1) | instid1(VALU_DEP_2)
	v_lshlrev_b64 v[9:10], 2, v[9:10]
	v_cndmask_b32_e64 v15, 8, v11, s0
	v_add_co_u32 v11, s0, s12, v9
	s_delay_alu instid0(VALU_DEP_1) | instskip(SKIP_1) | instid1(VALU_DEP_1)
	v_add_co_ci_u32_e64 v12, s0, s13, v10, s0
	v_add_co_u32 v13, s0, s8, v9
	v_add_co_ci_u32_e64 v14, s0, s9, v10, s0
	v_add_co_u32 v9, s0, s10, v9
	s_delay_alu instid0(VALU_DEP_1)
	v_add_co_ci_u32_e64 v10, s0, s11, v10, s0
	global_store_b32 v[11:12], v8, off
	global_store_b32 v[13:14], v15, off
	;; [unrolled: 1-line block ×3, first 2 shown]
.LBB6_10:                               ;   in Loop: Header=BB6_6 Depth=1
	s_or_b32 exec_lo, exec_lo, s2
	v_ashrrev_i32_e32 v8, 31, v7
	s_add_i32 s7, s7, 1
	s_delay_alu instid0(SALU_CYCLE_1) | instskip(SKIP_1) | instid1(VALU_DEP_1)
	s_cmp_lt_i32 s7, s4
	s_cselect_b32 s1, -1, 0
	v_lshrrev_b32_e32 v9, 30, v8
	s_waitcnt lgkmcnt(0)
	s_delay_alu instid0(VALU_DEP_1) | instskip(NEXT) | instid1(VALU_DEP_1)
	v_add_nc_u32_e32 v10, v7, v9
	v_ashrrev_i32_e32 v9, 2, v10
	v_lshrrev_b32_e32 v10, 31, v10
	s_delay_alu instid0(VALU_DEP_1) | instskip(NEXT) | instid1(VALU_DEP_1)
	v_add_nc_u32_e32 v10, v9, v10
	v_and_b32_e32 v10, -2, v10
	s_delay_alu instid0(VALU_DEP_1) | instskip(NEXT) | instid1(VALU_DEP_1)
	v_sub_nc_u32_e32 v10, v9, v10
	v_cmp_eq_u32_e64 s0, v2, v10
	s_delay_alu instid0(VALU_DEP_1) | instskip(NEXT) | instid1(SALU_CYCLE_1)
	s_and_b32 s1, s1, s0
	s_and_saveexec_b32 s0, s1
	s_cbranch_execz .LBB6_5
; %bb.11:                               ;   in Loop: Header=BB6_6 Depth=1
	v_lshrrev_b32_e32 v8, 29, v8
	v_lshlrev_b32_e32 v9, 2, v9
	s_delay_alu instid0(VALU_DEP_2) | instskip(NEXT) | instid1(VALU_DEP_2)
	v_add_nc_u32_e32 v8, v7, v8
	v_sub_nc_u32_e32 v7, v7, v9
	s_delay_alu instid0(VALU_DEP_2) | instskip(NEXT) | instid1(VALU_DEP_1)
	v_lshrrev_b32_e32 v8, 1, v8
	v_and_b32_e32 v8, 0x7ffffffc, v8
	s_delay_alu instid0(VALU_DEP_1) | instskip(NEXT) | instid1(VALU_DEP_1)
	v_add_nc_u32_e32 v7, v8, v7
	v_lshl_add_u32 v7, v7, 2, v0
	ds_store_b32 v7, v6
	s_branch .LBB6_5
.LBB6_12:                               ;   in Loop: Header=BB6_6 Depth=1
	v_cmp_eq_f32_e64 s0, v8, v9
	s_waitcnt lgkmcnt(0)
	v_cmp_lt_i32_e64 s1, v10, v7
	s_delay_alu instid0(VALU_DEP_1) | instskip(SKIP_2) | instid1(SALU_CYCLE_1)
	s_and_b32 s0, s0, s1
	s_and_not1_b32 s1, s2, exec_lo
	s_and_b32 s0, s0, exec_lo
	s_or_b32 s2, s1, s0
	s_or_b32 exec_lo, exec_lo, s3
	s_and_saveexec_b32 s0, s2
	s_cbranch_execz .LBB6_8
.LBB6_13:                               ;   in Loop: Header=BB6_6 Depth=1
	s_waitcnt lgkmcnt(0)
	v_dual_mov_b32 v8, v9 :: v_dual_mov_b32 v7, v10
	s_or_b32 exec_lo, exec_lo, s0
	s_and_saveexec_b32 s2, vcc_lo
	s_cbranch_execnz .LBB6_9
	s_branch .LBB6_10
.LBB6_14:
	s_nop 0
	s_sendmsg sendmsg(MSG_DEALLOC_VGPRS)
	s_endpgm
	.section	.rodata,"a",@progbits
	.p2align	6, 0x0
	.amdhsa_kernel _ZN4vllm3moe17topkGatingSoftmaxILi4ELi8ELi4ELi16ELi64EiEEvPKfPKbPfiPT4_Piiii
		.amdhsa_group_segment_fixed_size 4096
		.amdhsa_private_segment_fixed_size 0
		.amdhsa_kernarg_size 60
		.amdhsa_user_sgpr_count 15
		.amdhsa_user_sgpr_dispatch_ptr 1
		.amdhsa_user_sgpr_queue_ptr 0
		.amdhsa_user_sgpr_kernarg_segment_ptr 1
		.amdhsa_user_sgpr_dispatch_id 0
		.amdhsa_user_sgpr_private_segment_size 0
		.amdhsa_wavefront_size32 1
		.amdhsa_uses_dynamic_stack 0
		.amdhsa_enable_private_segment 0
		.amdhsa_system_sgpr_workgroup_id_x 1
		.amdhsa_system_sgpr_workgroup_id_y 0
		.amdhsa_system_sgpr_workgroup_id_z 0
		.amdhsa_system_sgpr_workgroup_info 0
		.amdhsa_system_vgpr_workitem_id 2
		.amdhsa_next_free_vgpr 22
		.amdhsa_next_free_sgpr 16
		.amdhsa_reserve_vcc 1
		.amdhsa_float_round_mode_32 0
		.amdhsa_float_round_mode_16_64 0
		.amdhsa_float_denorm_mode_32 3
		.amdhsa_float_denorm_mode_16_64 3
		.amdhsa_dx10_clamp 1
		.amdhsa_ieee_mode 1
		.amdhsa_fp16_overflow 0
		.amdhsa_workgroup_processor_mode 1
		.amdhsa_memory_ordered 1
		.amdhsa_forward_progress 0
		.amdhsa_shared_vgpr_count 0
		.amdhsa_exception_fp_ieee_invalid_op 0
		.amdhsa_exception_fp_denorm_src 0
		.amdhsa_exception_fp_ieee_div_zero 0
		.amdhsa_exception_fp_ieee_overflow 0
		.amdhsa_exception_fp_ieee_underflow 0
		.amdhsa_exception_fp_ieee_inexact 0
		.amdhsa_exception_int_div_zero 0
	.end_amdhsa_kernel
	.section	.text._ZN4vllm3moe17topkGatingSoftmaxILi4ELi8ELi4ELi16ELi64EiEEvPKfPKbPfiPT4_Piiii,"axG",@progbits,_ZN4vllm3moe17topkGatingSoftmaxILi4ELi8ELi4ELi16ELi64EiEEvPKfPKbPfiPT4_Piiii,comdat
.Lfunc_end6:
	.size	_ZN4vllm3moe17topkGatingSoftmaxILi4ELi8ELi4ELi16ELi64EiEEvPKfPKbPfiPT4_Piiii, .Lfunc_end6-_ZN4vllm3moe17topkGatingSoftmaxILi4ELi8ELi4ELi16ELi64EiEEvPKfPKbPfiPT4_Piiii
                                        ; -- End function
	.section	.AMDGPU.csdata,"",@progbits
; Kernel info:
; codeLenInByte = 1568
; NumSgprs: 18
; NumVgprs: 22
; ScratchSize: 0
; MemoryBound: 0
; FloatMode: 240
; IeeeMode: 1
; LDSByteSize: 4096 bytes/workgroup (compile time only)
; SGPRBlocks: 2
; VGPRBlocks: 2
; NumSGPRsForWavesPerEU: 18
; NumVGPRsForWavesPerEU: 22
; Occupancy: 16
; WaveLimiterHint : 0
; COMPUTE_PGM_RSRC2:SCRATCH_EN: 0
; COMPUTE_PGM_RSRC2:USER_SGPR: 15
; COMPUTE_PGM_RSRC2:TRAP_HANDLER: 0
; COMPUTE_PGM_RSRC2:TGID_X_EN: 1
; COMPUTE_PGM_RSRC2:TGID_Y_EN: 0
; COMPUTE_PGM_RSRC2:TGID_Z_EN: 0
; COMPUTE_PGM_RSRC2:TIDIG_COMP_CNT: 2
	.section	.text._ZN4vllm3moe17topkGatingSoftmaxILi4ELi8ELi4ELi16ELi32EiEEvPKfPKbPfiPT4_Piiii,"axG",@progbits,_ZN4vllm3moe17topkGatingSoftmaxILi4ELi8ELi4ELi16ELi32EiEEvPKfPKbPfiPT4_Piiii,comdat
	.protected	_ZN4vllm3moe17topkGatingSoftmaxILi4ELi8ELi4ELi16ELi32EiEEvPKfPKbPfiPT4_Piiii ; -- Begin function _ZN4vllm3moe17topkGatingSoftmaxILi4ELi8ELi4ELi16ELi32EiEEvPKfPKbPfiPT4_Piiii
	.globl	_ZN4vllm3moe17topkGatingSoftmaxILi4ELi8ELi4ELi16ELi32EiEEvPKfPKbPfiPT4_Piiii
	.p2align	8
	.type	_ZN4vllm3moe17topkGatingSoftmaxILi4ELi8ELi4ELi16ELi32EiEEvPKfPKbPfiPT4_Piiii,@function
_ZN4vllm3moe17topkGatingSoftmaxILi4ELi8ELi4ELi16ELi32EiEEvPKfPKbPfiPT4_Piiii: ; @_ZN4vllm3moe17topkGatingSoftmaxILi4ELi8ELi4ELi16ELi32EiEEvPKfPKbPfiPT4_Piiii
; %bb.0:
	s_load_b32 s14, s[2:3], 0x18
	v_bfe_u32 v5, v0, 10, 10
	v_and_b32_e32 v4, 0x3ff, v0
	s_lshl_b32 s4, s15, 6
	s_delay_alu instid0(VALU_DEP_2) | instskip(NEXT) | instid1(VALU_DEP_2)
	v_lshlrev_b32_e32 v1, 4, v5
	v_lshrrev_b32_e32 v2, 1, v4
	s_delay_alu instid0(VALU_DEP_1) | instskip(SKIP_2) | instid1(VALU_DEP_1)
	v_add3_u32 v1, s4, v1, v2
	s_mov_b32 s4, exec_lo
	s_waitcnt lgkmcnt(0)
	v_cmpx_gt_i32_e64 s14, v1
	s_cbranch_execz .LBB7_14
; %bb.1:
	s_clause 0x1
	s_load_b128 s[4:7], s[2:3], 0x0
	s_load_b64 s[12:13], s[2:3], 0x10
	s_mov_b32 s15, -1
	s_waitcnt lgkmcnt(0)
	s_cmp_eq_u64 s[6:7], 0
	s_cbranch_scc1 .LBB7_3
; %bb.2:
	v_ashrrev_i32_e32 v3, 31, v1
	v_add_co_u32 v2, vcc_lo, s6, v1
	s_delay_alu instid0(VALU_DEP_2) | instskip(SKIP_3) | instid1(VALU_DEP_1)
	v_add_co_ci_u32_e32 v3, vcc_lo, s7, v3, vcc_lo
	global_load_u8 v2, v[2:3], off
	s_waitcnt vmcnt(0)
	v_and_b32_e32 v2, 1, v2
	v_cmp_eq_u32_e32 vcc_lo, 1, v2
	s_xor_b32 s6, vcc_lo, -1
	s_delay_alu instid0(SALU_CYCLE_1)
	s_or_not1_b32 s15, s6, exec_lo
.LBB7_3:
	v_lshlrev_b32_e32 v6, 3, v1
	v_and_b32_e32 v2, 1, v4
	s_load_b64 s[0:1], s[0:1], 0x4
	v_bfe_u32 v0, v0, 20, 10
	s_delay_alu instid0(VALU_DEP_3) | instskip(NEXT) | instid1(VALU_DEP_3)
	v_ashrrev_i32_e32 v7, 31, v6
	v_lshlrev_b32_e32 v3, 4, v2
	s_delay_alu instid0(VALU_DEP_2) | instskip(NEXT) | instid1(VALU_DEP_1)
	v_lshlrev_b64 v[6:7], 2, v[6:7]
	v_add_co_u32 v6, vcc_lo, s4, v6
	s_delay_alu instid0(VALU_DEP_2) | instskip(SKIP_1) | instid1(VALU_DEP_2)
	v_add_co_ci_u32_e32 v7, vcc_lo, s5, v7, vcc_lo
	s_load_b128 s[4:7], s[2:3], 0x30
	v_add_co_u32 v6, vcc_lo, v6, v3
	s_delay_alu instid0(VALU_DEP_2)
	v_add_co_ci_u32_e32 v7, vcc_lo, 0, v7, vcc_lo
	v_mbcnt_lo_u32_b32 v3, -1, 0
	s_waitcnt lgkmcnt(0)
	v_mul_u32_u24_e32 v5, s1, v5
	s_lshr_b32 s0, s0, 16
	global_load_b128 v[6:9], v[6:7], off
	s_mul_i32 s0, s0, s1
	v_and_b32_e32 v10, 30, v3
	v_xor_b32_e32 v11, 1, v3
	v_mad_u32_u24 v4, s0, v4, v5
	s_mov_b32 s7, 0
	s_delay_alu instid0(VALU_DEP_3) | instskip(NEXT) | instid1(VALU_DEP_2)
	v_add_nc_u32_e32 v10, 2, v10
	v_add_lshl_u32 v0, v4, v0, 4
	s_delay_alu instid0(VALU_DEP_2) | instskip(SKIP_2) | instid1(VALU_DEP_1)
	v_cmp_lt_i32_e32 vcc_lo, v11, v10
	s_cmp_lt_i32 s4, 1
	v_cndmask_b32_e32 v3, v3, v11, vcc_lo
	v_lshlrev_b32_e32 v3, 2, v3
	s_waitcnt vmcnt(0)
	v_dual_max_f32 v12, v7, v7 :: v_dual_max_f32 v13, v6, v6
	s_delay_alu instid0(VALU_DEP_1) | instskip(NEXT) | instid1(VALU_DEP_1)
	v_max_f32_e32 v10, v13, v12
	v_max3_f32 v10, v10, v8, v9
	ds_bpermute_b32 v11, v3, v10
	s_waitcnt lgkmcnt(0)
	v_max_f32_e32 v11, v11, v11
	s_delay_alu instid0(VALU_DEP_1) | instskip(NEXT) | instid1(VALU_DEP_1)
	v_max_f32_e32 v10, v10, v11
	v_sub_f32_e32 v7, v7, v10
	s_delay_alu instid0(VALU_DEP_1) | instskip(NEXT) | instid1(VALU_DEP_1)
	v_mul_f32_e32 v11, 0x3fb8aa3b, v7
	v_rndne_f32_e32 v17, v11
	v_fma_f32 v16, 0x3fb8aa3b, v7, -v11
	s_delay_alu instid0(VALU_DEP_2) | instskip(SKIP_1) | instid1(VALU_DEP_1)
	v_sub_f32_e32 v11, v11, v17
	v_sub_f32_e32 v9, v9, v10
	v_dual_sub_f32 v8, v8, v10 :: v_dual_mul_f32 v13, 0x3fb8aa3b, v9
	s_delay_alu instid0(VALU_DEP_1) | instskip(SKIP_1) | instid1(VALU_DEP_3)
	v_mul_f32_e32 v12, 0x3fb8aa3b, v8
	v_fmac_f32_e32 v16, 0x32a5705f, v7
	v_rndne_f32_e32 v21, v13
	v_sub_f32_e32 v6, v6, v10
	v_fma_f32 v20, 0x3fb8aa3b, v9, -v13
	s_delay_alu instid0(VALU_DEP_4) | instskip(SKIP_1) | instid1(VALU_DEP_4)
	v_add_f32_e32 v11, v11, v16
	v_fma_f32 v18, 0x3fb8aa3b, v8, -v12
	v_dual_sub_f32 v13, v13, v21 :: v_dual_mul_f32 v10, 0x3fb8aa3b, v6
	v_rndne_f32_e32 v19, v12
	s_delay_alu instid0(VALU_DEP_4)
	v_exp_f32_e32 v11, v11
	v_cmp_ngt_f32_e32 vcc_lo, 0xc2ce8ed0, v6
	v_fmac_f32_e32 v18, 0x32a5705f, v8
	v_fma_f32 v14, 0x3fb8aa3b, v6, -v10
	v_rndne_f32_e32 v15, v10
	v_sub_f32_e32 v12, v12, v19
	v_cvt_i32_f32_e32 v16, v19
	s_delay_alu instid0(VALU_DEP_4) | instskip(NEXT) | instid1(VALU_DEP_4)
	v_fmac_f32_e32 v14, 0x32a5705f, v6
	v_sub_f32_e32 v10, v10, v15
	v_fmac_f32_e32 v20, 0x32a5705f, v9
	s_delay_alu instid0(VALU_DEP_2) | instskip(SKIP_2) | instid1(VALU_DEP_4)
	v_add_f32_e32 v10, v10, v14
	v_cvt_i32_f32_e32 v14, v15
	v_cvt_i32_f32_e32 v15, v17
	v_add_f32_e32 v13, v13, v20
	v_cvt_i32_f32_e32 v17, v21
	v_exp_f32_e32 v10, v10
	s_delay_alu instid0(VALU_DEP_3) | instskip(NEXT) | instid1(VALU_DEP_3)
	v_ldexp_f32 v11, v11, v15
	v_exp_f32_e32 v13, v13
	s_waitcnt_depctr 0xfff
	v_ldexp_f32 v10, v10, v14
	v_ldexp_f32 v13, v13, v17
	s_delay_alu instid0(VALU_DEP_2) | instskip(SKIP_3) | instid1(VALU_DEP_2)
	v_cndmask_b32_e32 v10, 0, v10, vcc_lo
	v_cmp_ngt_f32_e32 vcc_lo, 0xc2ce8ed0, v7
	v_dual_cndmask_b32 v11, 0, v11 :: v_dual_add_f32 v12, v12, v18
	v_cmp_ngt_f32_e32 vcc_lo, 0xc2ce8ed0, v8
	v_exp_f32_e32 v12, v12
	s_waitcnt_depctr 0xfff
	v_ldexp_f32 v12, v12, v16
	s_delay_alu instid0(VALU_DEP_1)
	v_cndmask_b32_e32 v12, 0, v12, vcc_lo
	v_cmp_nlt_f32_e32 vcc_lo, 0x42b17218, v6
	v_cndmask_b32_e32 v6, 0x7f800000, v10, vcc_lo
	v_cmp_nlt_f32_e32 vcc_lo, 0x42b17218, v7
	v_cndmask_b32_e32 v7, 0x7f800000, v11, vcc_lo
	v_cmp_ngt_f32_e32 vcc_lo, 0xc2ce8ed0, v9
	s_delay_alu instid0(VALU_DEP_2) | instskip(SKIP_3) | instid1(VALU_DEP_2)
	v_dual_add_f32 v11, v6, v7 :: v_dual_cndmask_b32 v10, 0, v13
	v_cmp_nlt_f32_e32 vcc_lo, 0x42b17218, v8
	v_cndmask_b32_e32 v8, 0x7f800000, v12, vcc_lo
	v_cmp_nlt_f32_e32 vcc_lo, 0x42b17218, v9
	v_dual_cndmask_b32 v9, 0x7f800000, v10 :: v_dual_add_f32 v10, v11, v8
	s_delay_alu instid0(VALU_DEP_1) | instskip(SKIP_3) | instid1(VALU_DEP_1)
	v_add_f32_e32 v10, v10, v9
	ds_bpermute_b32 v11, v3, v10
	s_waitcnt lgkmcnt(0)
	v_add_f32_e32 v10, v10, v11
	v_div_scale_f32 v11, null, v10, v10, 1.0
	v_div_scale_f32 v14, vcc_lo, 1.0, v10, 1.0
	s_delay_alu instid0(VALU_DEP_2) | instskip(SKIP_2) | instid1(VALU_DEP_1)
	v_rcp_f32_e32 v12, v11
	s_waitcnt_depctr 0xfff
	v_fma_f32 v13, -v11, v12, 1.0
	v_fmac_f32_e32 v12, v13, v12
	s_delay_alu instid0(VALU_DEP_1) | instskip(NEXT) | instid1(VALU_DEP_1)
	v_mul_f32_e32 v13, v14, v12
	v_fma_f32 v15, -v11, v13, v14
	s_delay_alu instid0(VALU_DEP_1) | instskip(NEXT) | instid1(VALU_DEP_1)
	v_fmac_f32_e32 v13, v15, v12
	v_fma_f32 v11, -v11, v13, v14
	s_delay_alu instid0(VALU_DEP_1) | instskip(NEXT) | instid1(VALU_DEP_1)
	v_div_fmas_f32 v11, v11, v12, v13
	v_div_fixup_f32 v10, v11, v10, 1.0
	s_delay_alu instid0(VALU_DEP_1)
	v_mul_f32_e32 v5, v10, v7
	v_mul_f32_e32 v7, v10, v9
	;; [unrolled: 1-line block ×4, first 2 shown]
	ds_store_b128 v0, v[4:7]
	s_cbranch_scc1 .LBB7_14
; %bb.4:
	s_load_b128 s[8:11], s[2:3], 0x20
	v_mul_lo_u32 v4, v1, s4
	v_dual_mov_b32 v6, 0xc61c4000 :: v_dual_lshlrev_b32 v5, 2, v2
	v_cmp_eq_u32_e32 vcc_lo, 0, v2
	s_branch .LBB7_6
.LBB7_5:                                ;   in Loop: Header=BB7_6 Depth=1
	s_or_b32 exec_lo, exec_lo, s0
	v_add_nc_u32_e32 v1, s14, v1
	s_cmp_lg_u32 s4, s7
	s_cbranch_scc0 .LBB7_14
.LBB7_6:                                ; =>This Inner Loop Header: Depth=1
	ds_load_b128 v[7:10], v0
	s_mov_b32 s3, exec_lo
	s_waitcnt lgkmcnt(0)
	v_cmp_gt_f32_e64 s0, v8, v7
	s_delay_alu instid0(VALU_DEP_1) | instskip(SKIP_1) | instid1(VALU_DEP_2)
	v_cndmask_b32_e64 v7, v7, v8, s0
	v_cndmask_b32_e64 v8, 0, 1, s0
	v_cmp_gt_f32_e64 s0, v9, v7
	s_delay_alu instid0(VALU_DEP_1) | instskip(NEXT) | instid1(VALU_DEP_3)
	v_cndmask_b32_e64 v7, v7, v9, s0
	v_cndmask_b32_e64 v9, v8, 2, s0
	s_delay_alu instid0(VALU_DEP_2) | instskip(NEXT) | instid1(VALU_DEP_1)
	v_cmp_gt_f32_e64 s0, v10, v7
	v_cndmask_b32_e64 v8, v7, v10, s0
	s_delay_alu instid0(VALU_DEP_3)
	v_cndmask_b32_e64 v7, v9, 3, s0
	ds_bpermute_b32 v9, v3, v8
	v_or_b32_e32 v7, v5, v7
	ds_bpermute_b32 v10, v3, v7
	s_waitcnt lgkmcnt(1)
	v_cmp_lt_f32_e64 s2, v8, v9
	v_cmpx_nlt_f32_e32 v8, v9
	s_cbranch_execnz .LBB7_12
; %bb.7:                                ;   in Loop: Header=BB7_6 Depth=1
	s_or_b32 exec_lo, exec_lo, s3
	s_delay_alu instid0(VALU_DEP_2)
	s_and_saveexec_b32 s0, s2
	s_cbranch_execnz .LBB7_13
.LBB7_8:                                ;   in Loop: Header=BB7_6 Depth=1
	s_or_b32 exec_lo, exec_lo, s0
	s_and_saveexec_b32 s2, vcc_lo
	s_cbranch_execz .LBB7_10
.LBB7_9:                                ;   in Loop: Header=BB7_6 Depth=1
	v_add_nc_u32_e32 v9, s7, v4
	v_cmp_le_i32_e64 s0, s5, v7
	v_cmp_gt_i32_e64 s1, s6, v7
	v_subrev_nc_u32_e32 v11, s5, v7
	s_waitcnt lgkmcnt(0)
	v_ashrrev_i32_e32 v10, 31, v9
	s_delay_alu instid0(VALU_DEP_3) | instskip(NEXT) | instid1(SALU_CYCLE_1)
	s_and_b32 s0, s0, s1
	s_and_b32 s0, s15, s0
	s_delay_alu instid0(VALU_DEP_1) | instskip(SKIP_1) | instid1(VALU_DEP_2)
	v_lshlrev_b64 v[9:10], 2, v[9:10]
	v_cndmask_b32_e64 v15, 8, v11, s0
	v_add_co_u32 v11, s0, s12, v9
	s_delay_alu instid0(VALU_DEP_1) | instskip(SKIP_1) | instid1(VALU_DEP_1)
	v_add_co_ci_u32_e64 v12, s0, s13, v10, s0
	v_add_co_u32 v13, s0, s8, v9
	v_add_co_ci_u32_e64 v14, s0, s9, v10, s0
	v_add_co_u32 v9, s0, s10, v9
	s_delay_alu instid0(VALU_DEP_1)
	v_add_co_ci_u32_e64 v10, s0, s11, v10, s0
	global_store_b32 v[11:12], v8, off
	global_store_b32 v[13:14], v15, off
	;; [unrolled: 1-line block ×3, first 2 shown]
.LBB7_10:                               ;   in Loop: Header=BB7_6 Depth=1
	s_or_b32 exec_lo, exec_lo, s2
	v_ashrrev_i32_e32 v8, 31, v7
	s_add_i32 s7, s7, 1
	s_delay_alu instid0(SALU_CYCLE_1) | instskip(SKIP_1) | instid1(VALU_DEP_1)
	s_cmp_lt_i32 s7, s4
	s_cselect_b32 s1, -1, 0
	v_lshrrev_b32_e32 v9, 30, v8
	s_waitcnt lgkmcnt(0)
	s_delay_alu instid0(VALU_DEP_1) | instskip(NEXT) | instid1(VALU_DEP_1)
	v_add_nc_u32_e32 v10, v7, v9
	v_ashrrev_i32_e32 v9, 2, v10
	v_lshrrev_b32_e32 v10, 31, v10
	s_delay_alu instid0(VALU_DEP_1) | instskip(NEXT) | instid1(VALU_DEP_1)
	v_add_nc_u32_e32 v10, v9, v10
	v_and_b32_e32 v10, -2, v10
	s_delay_alu instid0(VALU_DEP_1) | instskip(NEXT) | instid1(VALU_DEP_1)
	v_sub_nc_u32_e32 v10, v9, v10
	v_cmp_eq_u32_e64 s0, v2, v10
	s_delay_alu instid0(VALU_DEP_1) | instskip(NEXT) | instid1(SALU_CYCLE_1)
	s_and_b32 s1, s1, s0
	s_and_saveexec_b32 s0, s1
	s_cbranch_execz .LBB7_5
; %bb.11:                               ;   in Loop: Header=BB7_6 Depth=1
	v_lshrrev_b32_e32 v8, 29, v8
	v_lshlrev_b32_e32 v9, 2, v9
	s_delay_alu instid0(VALU_DEP_2) | instskip(NEXT) | instid1(VALU_DEP_2)
	v_add_nc_u32_e32 v8, v7, v8
	v_sub_nc_u32_e32 v7, v7, v9
	s_delay_alu instid0(VALU_DEP_2) | instskip(NEXT) | instid1(VALU_DEP_1)
	v_lshrrev_b32_e32 v8, 1, v8
	v_and_b32_e32 v8, 0x7ffffffc, v8
	s_delay_alu instid0(VALU_DEP_1) | instskip(NEXT) | instid1(VALU_DEP_1)
	v_add_nc_u32_e32 v7, v8, v7
	v_lshl_add_u32 v7, v7, 2, v0
	ds_store_b32 v7, v6
	s_branch .LBB7_5
.LBB7_12:                               ;   in Loop: Header=BB7_6 Depth=1
	v_cmp_eq_f32_e64 s0, v8, v9
	s_waitcnt lgkmcnt(0)
	v_cmp_lt_i32_e64 s1, v10, v7
	s_delay_alu instid0(VALU_DEP_1) | instskip(SKIP_2) | instid1(SALU_CYCLE_1)
	s_and_b32 s0, s0, s1
	s_and_not1_b32 s1, s2, exec_lo
	s_and_b32 s0, s0, exec_lo
	s_or_b32 s2, s1, s0
	s_or_b32 exec_lo, exec_lo, s3
	s_and_saveexec_b32 s0, s2
	s_cbranch_execz .LBB7_8
.LBB7_13:                               ;   in Loop: Header=BB7_6 Depth=1
	s_waitcnt lgkmcnt(0)
	v_dual_mov_b32 v8, v9 :: v_dual_mov_b32 v7, v10
	s_or_b32 exec_lo, exec_lo, s0
	s_and_saveexec_b32 s2, vcc_lo
	s_cbranch_execnz .LBB7_9
	s_branch .LBB7_10
.LBB7_14:
	s_nop 0
	s_sendmsg sendmsg(MSG_DEALLOC_VGPRS)
	s_endpgm
	.section	.rodata,"a",@progbits
	.p2align	6, 0x0
	.amdhsa_kernel _ZN4vllm3moe17topkGatingSoftmaxILi4ELi8ELi4ELi16ELi32EiEEvPKfPKbPfiPT4_Piiii
		.amdhsa_group_segment_fixed_size 2048
		.amdhsa_private_segment_fixed_size 0
		.amdhsa_kernarg_size 60
		.amdhsa_user_sgpr_count 15
		.amdhsa_user_sgpr_dispatch_ptr 1
		.amdhsa_user_sgpr_queue_ptr 0
		.amdhsa_user_sgpr_kernarg_segment_ptr 1
		.amdhsa_user_sgpr_dispatch_id 0
		.amdhsa_user_sgpr_private_segment_size 0
		.amdhsa_wavefront_size32 1
		.amdhsa_uses_dynamic_stack 0
		.amdhsa_enable_private_segment 0
		.amdhsa_system_sgpr_workgroup_id_x 1
		.amdhsa_system_sgpr_workgroup_id_y 0
		.amdhsa_system_sgpr_workgroup_id_z 0
		.amdhsa_system_sgpr_workgroup_info 0
		.amdhsa_system_vgpr_workitem_id 2
		.amdhsa_next_free_vgpr 22
		.amdhsa_next_free_sgpr 16
		.amdhsa_reserve_vcc 1
		.amdhsa_float_round_mode_32 0
		.amdhsa_float_round_mode_16_64 0
		.amdhsa_float_denorm_mode_32 3
		.amdhsa_float_denorm_mode_16_64 3
		.amdhsa_dx10_clamp 1
		.amdhsa_ieee_mode 1
		.amdhsa_fp16_overflow 0
		.amdhsa_workgroup_processor_mode 1
		.amdhsa_memory_ordered 1
		.amdhsa_forward_progress 0
		.amdhsa_shared_vgpr_count 0
		.amdhsa_exception_fp_ieee_invalid_op 0
		.amdhsa_exception_fp_denorm_src 0
		.amdhsa_exception_fp_ieee_div_zero 0
		.amdhsa_exception_fp_ieee_overflow 0
		.amdhsa_exception_fp_ieee_underflow 0
		.amdhsa_exception_fp_ieee_inexact 0
		.amdhsa_exception_int_div_zero 0
	.end_amdhsa_kernel
	.section	.text._ZN4vllm3moe17topkGatingSoftmaxILi4ELi8ELi4ELi16ELi32EiEEvPKfPKbPfiPT4_Piiii,"axG",@progbits,_ZN4vllm3moe17topkGatingSoftmaxILi4ELi8ELi4ELi16ELi32EiEEvPKfPKbPfiPT4_Piiii,comdat
.Lfunc_end7:
	.size	_ZN4vllm3moe17topkGatingSoftmaxILi4ELi8ELi4ELi16ELi32EiEEvPKfPKbPfiPT4_Piiii, .Lfunc_end7-_ZN4vllm3moe17topkGatingSoftmaxILi4ELi8ELi4ELi16ELi32EiEEvPKfPKbPfiPT4_Piiii
                                        ; -- End function
	.section	.AMDGPU.csdata,"",@progbits
; Kernel info:
; codeLenInByte = 1564
; NumSgprs: 18
; NumVgprs: 22
; ScratchSize: 0
; MemoryBound: 0
; FloatMode: 240
; IeeeMode: 1
; LDSByteSize: 2048 bytes/workgroup (compile time only)
; SGPRBlocks: 2
; VGPRBlocks: 2
; NumSGPRsForWavesPerEU: 18
; NumVGPRsForWavesPerEU: 22
; Occupancy: 16
; WaveLimiterHint : 0
; COMPUTE_PGM_RSRC2:SCRATCH_EN: 0
; COMPUTE_PGM_RSRC2:USER_SGPR: 15
; COMPUTE_PGM_RSRC2:TRAP_HANDLER: 0
; COMPUTE_PGM_RSRC2:TGID_X_EN: 1
; COMPUTE_PGM_RSRC2:TGID_Y_EN: 0
; COMPUTE_PGM_RSRC2:TGID_Z_EN: 0
; COMPUTE_PGM_RSRC2:TIDIG_COMP_CNT: 2
	.section	.text._ZN4vllm3moe17topkGatingSoftmaxILi4ELi16ELi4ELi16ELi64EiEEvPKfPKbPfiPT4_Piiii,"axG",@progbits,_ZN4vllm3moe17topkGatingSoftmaxILi4ELi16ELi4ELi16ELi64EiEEvPKfPKbPfiPT4_Piiii,comdat
	.protected	_ZN4vllm3moe17topkGatingSoftmaxILi4ELi16ELi4ELi16ELi64EiEEvPKfPKbPfiPT4_Piiii ; -- Begin function _ZN4vllm3moe17topkGatingSoftmaxILi4ELi16ELi4ELi16ELi64EiEEvPKfPKbPfiPT4_Piiii
	.globl	_ZN4vllm3moe17topkGatingSoftmaxILi4ELi16ELi4ELi16ELi64EiEEvPKfPKbPfiPT4_Piiii
	.p2align	8
	.type	_ZN4vllm3moe17topkGatingSoftmaxILi4ELi16ELi4ELi16ELi64EiEEvPKfPKbPfiPT4_Piiii,@function
_ZN4vllm3moe17topkGatingSoftmaxILi4ELi16ELi4ELi16ELi64EiEEvPKfPKbPfiPT4_Piiii: ; @_ZN4vllm3moe17topkGatingSoftmaxILi4ELi16ELi4ELi16ELi64EiEEvPKfPKbPfiPT4_Piiii
; %bb.0:
	s_load_b32 s14, s[2:3], 0x18
	v_bfe_u32 v5, v0, 10, 10
	v_and_b32_e32 v6, 0x3ff, v0
	s_lshl_b32 s4, s15, 6
	s_delay_alu instid0(VALU_DEP_2) | instskip(NEXT) | instid1(VALU_DEP_2)
	v_lshlrev_b32_e32 v1, 4, v5
	v_lshrrev_b32_e32 v2, 2, v6
	s_delay_alu instid0(VALU_DEP_1) | instskip(SKIP_2) | instid1(VALU_DEP_1)
	v_add3_u32 v1, s4, v1, v2
	s_mov_b32 s4, exec_lo
	s_waitcnt lgkmcnt(0)
	v_cmpx_gt_i32_e64 s14, v1
	s_cbranch_execz .LBB8_18
; %bb.1:
	s_clause 0x1
	s_load_b128 s[4:7], s[2:3], 0x0
	s_load_b64 s[12:13], s[2:3], 0x10
	s_mov_b32 s15, -1
	s_waitcnt lgkmcnt(0)
	s_cmp_eq_u64 s[6:7], 0
	s_cbranch_scc1 .LBB8_3
; %bb.2:
	v_ashrrev_i32_e32 v3, 31, v1
	v_add_co_u32 v2, vcc_lo, s6, v1
	s_delay_alu instid0(VALU_DEP_2) | instskip(SKIP_3) | instid1(VALU_DEP_1)
	v_add_co_ci_u32_e32 v3, vcc_lo, s7, v3, vcc_lo
	global_load_u8 v2, v[2:3], off
	s_waitcnt vmcnt(0)
	v_and_b32_e32 v2, 1, v2
	v_cmp_eq_u32_e32 vcc_lo, 1, v2
	s_xor_b32 s6, vcc_lo, -1
	s_delay_alu instid0(SALU_CYCLE_1)
	s_or_not1_b32 s15, s6, exec_lo
.LBB8_3:
	v_lshlrev_b32_e32 v3, 4, v1
	v_and_b32_e32 v2, 3, v6
	s_load_b64 s[0:1], s[0:1], 0x4
	v_bfe_u32 v0, v0, 20, 10
	s_delay_alu instid0(VALU_DEP_3) | instskip(NEXT) | instid1(VALU_DEP_3)
	v_ashrrev_i32_e32 v4, 31, v3
	v_lshlrev_b32_e32 v7, 4, v2
	s_delay_alu instid0(VALU_DEP_2) | instskip(NEXT) | instid1(VALU_DEP_1)
	v_lshlrev_b64 v[3:4], 2, v[3:4]
	v_add_co_u32 v3, vcc_lo, s4, v3
	s_delay_alu instid0(VALU_DEP_2) | instskip(SKIP_1) | instid1(VALU_DEP_2)
	v_add_co_ci_u32_e32 v4, vcc_lo, s5, v4, vcc_lo
	s_load_b128 s[4:7], s[2:3], 0x30
	v_add_co_u32 v3, vcc_lo, v3, v7
	s_delay_alu instid0(VALU_DEP_2)
	v_add_co_ci_u32_e32 v4, vcc_lo, 0, v4, vcc_lo
	s_waitcnt lgkmcnt(0)
	s_lshr_b32 s0, s0, 16
	s_mov_b32 s7, 0
	s_mul_i32 s0, s0, s1
	global_load_b128 v[7:10], v[3:4], off
	v_mbcnt_lo_u32_b32 v4, -1, 0
	v_mul_lo_u32 v6, s0, v6
	s_delay_alu instid0(VALU_DEP_2) | instskip(SKIP_2) | instid1(VALU_DEP_4)
	v_and_b32_e32 v3, 28, v4
	v_xor_b32_e32 v11, 2, v4
	v_xor_b32_e32 v14, 1, v4
	v_mad_u32_u24 v5, v5, s1, v6
	s_delay_alu instid0(VALU_DEP_4) | instskip(SKIP_1) | instid1(VALU_DEP_2)
	v_add_nc_u32_e32 v12, 4, v3
	s_cmp_lt_i32 s4, 1
	v_add_lshl_u32 v0, v5, v0, 4
	s_delay_alu instid0(VALU_DEP_2) | instskip(SKIP_3) | instid1(VALU_DEP_1)
	v_cmp_lt_i32_e32 vcc_lo, v11, v12
	v_cndmask_b32_e32 v11, v4, v11, vcc_lo
	v_cmp_lt_i32_e32 vcc_lo, v14, v12
	v_cndmask_b32_e32 v4, v4, v14, vcc_lo
	v_lshlrev_b32_e32 v4, 2, v4
	s_waitcnt vmcnt(0)
	v_max_f32_e32 v3, v8, v8
	v_max_f32_e32 v13, v7, v7
	s_delay_alu instid0(VALU_DEP_1) | instskip(SKIP_1) | instid1(VALU_DEP_2)
	v_max_f32_e32 v13, v13, v3
	v_lshlrev_b32_e32 v3, 2, v11
	v_max3_f32 v11, v13, v9, v10
	ds_bpermute_b32 v13, v3, v11
	s_waitcnt lgkmcnt(0)
	v_max_f32_e32 v12, v13, v13
	s_delay_alu instid0(VALU_DEP_1) | instskip(SKIP_3) | instid1(VALU_DEP_1)
	v_max_f32_e32 v11, v11, v12
	ds_bpermute_b32 v12, v4, v11
	s_waitcnt lgkmcnt(0)
	v_max_f32_e32 v12, v12, v12
	v_max_f32_e32 v11, v11, v12
	s_delay_alu instid0(VALU_DEP_1) | instskip(NEXT) | instid1(VALU_DEP_1)
	v_sub_f32_e32 v10, v10, v11
	v_mul_f32_e32 v14, 0x3fb8aa3b, v10
	s_delay_alu instid0(VALU_DEP_1) | instskip(SKIP_1) | instid1(VALU_DEP_2)
	v_rndne_f32_e32 v22, v14
	v_fma_f32 v21, 0x3fb8aa3b, v10, -v14
	v_sub_f32_e32 v14, v14, v22
	s_delay_alu instid0(VALU_DEP_2) | instskip(NEXT) | instid1(VALU_DEP_1)
	v_dual_sub_f32 v8, v8, v11 :: v_dual_fmac_f32 v21, 0x32a5705f, v10
	v_dual_sub_f32 v9, v9, v11 :: v_dual_mul_f32 v12, 0x3fb8aa3b, v8
	s_delay_alu instid0(VALU_DEP_2) | instskip(NEXT) | instid1(VALU_DEP_2)
	v_add_f32_e32 v14, v14, v21
	v_mul_f32_e32 v13, 0x3fb8aa3b, v9
	s_delay_alu instid0(VALU_DEP_3) | instskip(SKIP_1) | instid1(VALU_DEP_3)
	v_fma_f32 v17, 0x3fb8aa3b, v8, -v12
	v_rndne_f32_e32 v18, v12
	v_fma_f32 v19, 0x3fb8aa3b, v9, -v13
	v_rndne_f32_e32 v20, v13
	v_exp_f32_e32 v14, v14
	s_delay_alu instid0(VALU_DEP_3) | instskip(SKIP_2) | instid1(VALU_DEP_3)
	v_dual_fmac_f32 v17, 0x32a5705f, v8 :: v_dual_sub_f32 v12, v12, v18
	v_sub_f32_e32 v7, v7, v11
	v_fmac_f32_e32 v19, 0x32a5705f, v9
	v_dual_sub_f32 v13, v13, v20 :: v_dual_add_f32 v12, v12, v17
	s_delay_alu instid0(VALU_DEP_3) | instskip(SKIP_1) | instid1(VALU_DEP_3)
	v_mul_f32_e32 v11, 0x3fb8aa3b, v7
	v_cmp_ngt_f32_e32 vcc_lo, 0xc2ce8ed0, v7
	v_add_f32_e32 v13, v13, v19
	v_cvt_i32_f32_e32 v17, v20
	v_exp_f32_e32 v12, v12
	v_fma_f32 v15, 0x3fb8aa3b, v7, -v11
	v_rndne_f32_e32 v16, v11
	v_exp_f32_e32 v13, v13
	s_delay_alu instid0(VALU_DEP_2) | instskip(NEXT) | instid1(VALU_DEP_2)
	v_fmac_f32_e32 v15, 0x32a5705f, v7
	v_sub_f32_e32 v11, v11, v16
	s_delay_alu instid0(VALU_DEP_1)
	v_add_f32_e32 v11, v11, v15
	v_cvt_i32_f32_e32 v15, v16
	v_cvt_i32_f32_e32 v16, v18
	s_waitcnt_depctr 0xfff
	v_ldexp_f32 v13, v13, v17
	v_cvt_i32_f32_e32 v18, v22
	v_exp_f32_e32 v11, v11
	v_ldexp_f32 v12, v12, v16
	s_delay_alu instid0(VALU_DEP_2) | instskip(SKIP_2) | instid1(VALU_DEP_1)
	v_ldexp_f32 v14, v14, v18
	s_waitcnt_depctr 0xfff
	v_ldexp_f32 v11, v11, v15
	v_cndmask_b32_e32 v11, 0, v11, vcc_lo
	v_cmp_ngt_f32_e32 vcc_lo, 0xc2ce8ed0, v8
	v_cndmask_b32_e32 v12, 0, v12, vcc_lo
	v_cmp_ngt_f32_e32 vcc_lo, 0xc2ce8ed0, v9
	v_cndmask_b32_e32 v13, 0, v13, vcc_lo
	v_cmp_nlt_f32_e32 vcc_lo, 0x42b17218, v7
	v_cndmask_b32_e32 v7, 0x7f800000, v11, vcc_lo
	v_cmp_nlt_f32_e32 vcc_lo, 0x42b17218, v8
	v_cndmask_b32_e32 v8, 0x7f800000, v12, vcc_lo
	v_cmp_ngt_f32_e32 vcc_lo, 0xc2ce8ed0, v10
	s_delay_alu instid0(VALU_DEP_2) | instskip(SKIP_3) | instid1(VALU_DEP_2)
	v_dual_add_f32 v12, v7, v8 :: v_dual_cndmask_b32 v11, 0, v14
	v_cmp_nlt_f32_e32 vcc_lo, 0x42b17218, v9
	v_cndmask_b32_e32 v9, 0x7f800000, v13, vcc_lo
	v_cmp_nlt_f32_e32 vcc_lo, 0x42b17218, v10
	v_dual_cndmask_b32 v10, 0x7f800000, v11 :: v_dual_add_f32 v11, v12, v9
	s_delay_alu instid0(VALU_DEP_1)
	v_add_f32_e32 v11, v11, v10
	ds_bpermute_b32 v12, v3, v11
	s_waitcnt lgkmcnt(0)
	v_add_f32_e32 v11, v11, v12
	ds_bpermute_b32 v12, v4, v11
	s_waitcnt lgkmcnt(0)
	v_add_f32_e32 v11, v11, v12
	s_delay_alu instid0(VALU_DEP_1) | instskip(SKIP_1) | instid1(VALU_DEP_2)
	v_div_scale_f32 v12, null, v11, v11, 1.0
	v_div_scale_f32 v15, vcc_lo, 1.0, v11, 1.0
	v_rcp_f32_e32 v13, v12
	s_waitcnt_depctr 0xfff
	v_fma_f32 v14, -v12, v13, 1.0
	s_delay_alu instid0(VALU_DEP_1) | instskip(NEXT) | instid1(VALU_DEP_1)
	v_fmac_f32_e32 v13, v14, v13
	v_mul_f32_e32 v14, v15, v13
	s_delay_alu instid0(VALU_DEP_1) | instskip(NEXT) | instid1(VALU_DEP_1)
	v_fma_f32 v16, -v12, v14, v15
	v_fmac_f32_e32 v14, v16, v13
	s_delay_alu instid0(VALU_DEP_1) | instskip(NEXT) | instid1(VALU_DEP_1)
	v_fma_f32 v12, -v12, v14, v15
	v_div_fmas_f32 v12, v12, v13, v14
	s_delay_alu instid0(VALU_DEP_1) | instskip(NEXT) | instid1(VALU_DEP_1)
	v_div_fixup_f32 v11, v12, v11, 1.0
	v_mul_f32_e32 v5, v11, v7
	v_mul_f32_e32 v6, v11, v8
	;; [unrolled: 1-line block ×4, first 2 shown]
	ds_store_b128 v0, v[5:8]
	s_cbranch_scc1 .LBB8_18
; %bb.4:
	s_load_b128 s[8:11], s[2:3], 0x20
	v_mul_lo_u32 v5, v1, s4
	v_dual_mov_b32 v7, 0xc61c4000 :: v_dual_lshlrev_b32 v6, 2, v2
	v_cmp_eq_u32_e32 vcc_lo, 0, v2
	s_branch .LBB8_6
.LBB8_5:                                ;   in Loop: Header=BB8_6 Depth=1
	s_or_b32 exec_lo, exec_lo, s0
	v_add_nc_u32_e32 v1, s14, v1
	s_cmp_lg_u32 s4, s7
	s_cbranch_scc0 .LBB8_18
.LBB8_6:                                ; =>This Inner Loop Header: Depth=1
	ds_load_b128 v[8:11], v0
	s_mov_b32 s3, exec_lo
	s_waitcnt lgkmcnt(0)
	v_cmp_gt_f32_e64 s0, v9, v8
	s_delay_alu instid0(VALU_DEP_1) | instskip(SKIP_1) | instid1(VALU_DEP_2)
	v_cndmask_b32_e64 v8, v8, v9, s0
	v_cndmask_b32_e64 v9, 0, 1, s0
	v_cmp_gt_f32_e64 s0, v10, v8
	s_delay_alu instid0(VALU_DEP_1) | instskip(NEXT) | instid1(VALU_DEP_3)
	v_cndmask_b32_e64 v8, v8, v10, s0
	v_cndmask_b32_e64 v10, v9, 2, s0
	s_delay_alu instid0(VALU_DEP_2) | instskip(NEXT) | instid1(VALU_DEP_1)
	v_cmp_gt_f32_e64 s0, v11, v8
	v_cndmask_b32_e64 v9, v8, v11, s0
	s_delay_alu instid0(VALU_DEP_3)
	v_cndmask_b32_e64 v8, v10, 3, s0
	ds_bpermute_b32 v10, v3, v9
	v_or_b32_e32 v8, v6, v8
	ds_bpermute_b32 v11, v3, v8
	s_waitcnt lgkmcnt(1)
	v_cmp_lt_f32_e64 s2, v9, v10
	v_cmpx_nlt_f32_e32 v9, v10
	s_cbranch_execz .LBB8_8
; %bb.7:                                ;   in Loop: Header=BB8_6 Depth=1
	v_cmp_eq_f32_e64 s0, v9, v10
	s_waitcnt lgkmcnt(0)
	v_cmp_lt_i32_e64 s1, v11, v8
	s_delay_alu instid0(VALU_DEP_1) | instskip(SKIP_2) | instid1(SALU_CYCLE_1)
	s_and_b32 s0, s0, s1
	s_and_not1_b32 s1, s2, exec_lo
	s_and_b32 s0, s0, exec_lo
	s_or_b32 s2, s1, s0
.LBB8_8:                                ;   in Loop: Header=BB8_6 Depth=1
	s_or_b32 exec_lo, exec_lo, s3
	s_delay_alu instid0(VALU_DEP_2)
	s_and_saveexec_b32 s0, s2
	s_cbranch_execz .LBB8_10
; %bb.9:                                ;   in Loop: Header=BB8_6 Depth=1
	s_waitcnt lgkmcnt(0)
	v_dual_mov_b32 v9, v10 :: v_dual_mov_b32 v8, v11
.LBB8_10:                               ;   in Loop: Header=BB8_6 Depth=1
	s_or_b32 exec_lo, exec_lo, s0
	ds_bpermute_b32 v10, v4, v9
	s_waitcnt lgkmcnt(1)
	ds_bpermute_b32 v11, v4, v8
	s_mov_b32 s3, exec_lo
	s_waitcnt lgkmcnt(1)
	v_cmp_lt_f32_e64 s2, v9, v10
	v_cmpx_nlt_f32_e32 v9, v10
	s_cbranch_execnz .LBB8_16
; %bb.11:                               ;   in Loop: Header=BB8_6 Depth=1
	s_or_b32 exec_lo, exec_lo, s3
	s_delay_alu instid0(VALU_DEP_2)
	s_and_saveexec_b32 s0, s2
	s_cbranch_execnz .LBB8_17
.LBB8_12:                               ;   in Loop: Header=BB8_6 Depth=1
	s_or_b32 exec_lo, exec_lo, s0
	s_and_saveexec_b32 s2, vcc_lo
	s_cbranch_execz .LBB8_14
.LBB8_13:                               ;   in Loop: Header=BB8_6 Depth=1
	v_add_nc_u32_e32 v10, s7, v5
	v_cmp_le_i32_e64 s0, s5, v8
	v_cmp_gt_i32_e64 s1, s6, v8
	v_subrev_nc_u32_e32 v12, s5, v8
	s_waitcnt lgkmcnt(0)
	v_ashrrev_i32_e32 v11, 31, v10
	s_delay_alu instid0(VALU_DEP_3) | instskip(NEXT) | instid1(SALU_CYCLE_1)
	s_and_b32 s0, s0, s1
	s_and_b32 s0, s15, s0
	s_delay_alu instid0(VALU_DEP_1) | instskip(SKIP_1) | instid1(VALU_DEP_2)
	v_lshlrev_b64 v[10:11], 2, v[10:11]
	v_cndmask_b32_e64 v16, 16, v12, s0
	v_add_co_u32 v12, s0, s12, v10
	s_delay_alu instid0(VALU_DEP_1) | instskip(SKIP_1) | instid1(VALU_DEP_1)
	v_add_co_ci_u32_e64 v13, s0, s13, v11, s0
	v_add_co_u32 v14, s0, s8, v10
	v_add_co_ci_u32_e64 v15, s0, s9, v11, s0
	v_add_co_u32 v10, s0, s10, v10
	s_delay_alu instid0(VALU_DEP_1)
	v_add_co_ci_u32_e64 v11, s0, s11, v11, s0
	global_store_b32 v[12:13], v9, off
	global_store_b32 v[14:15], v16, off
	;; [unrolled: 1-line block ×3, first 2 shown]
.LBB8_14:                               ;   in Loop: Header=BB8_6 Depth=1
	s_or_b32 exec_lo, exec_lo, s2
	v_ashrrev_i32_e32 v9, 31, v8
	s_add_i32 s7, s7, 1
	s_delay_alu instid0(SALU_CYCLE_1) | instskip(SKIP_1) | instid1(VALU_DEP_1)
	s_cmp_lt_i32 s7, s4
	s_cselect_b32 s1, -1, 0
	v_lshrrev_b32_e32 v10, 30, v9
	s_delay_alu instid0(VALU_DEP_1) | instskip(NEXT) | instid1(VALU_DEP_1)
	v_add_nc_u32_e32 v10, v8, v10
	v_ashrrev_i32_e32 v10, 2, v10
	s_waitcnt lgkmcnt(0)
	s_delay_alu instid0(VALU_DEP_1) | instskip(NEXT) | instid1(VALU_DEP_1)
	v_lshrrev_b32_e32 v11, 30, v10
	v_add_nc_u32_e32 v11, v10, v11
	s_delay_alu instid0(VALU_DEP_1) | instskip(NEXT) | instid1(VALU_DEP_1)
	v_and_b32_e32 v11, -4, v11
	v_sub_nc_u32_e32 v11, v10, v11
	s_delay_alu instid0(VALU_DEP_1) | instskip(NEXT) | instid1(VALU_DEP_1)
	v_cmp_eq_u32_e64 s0, v2, v11
	s_and_b32 s1, s1, s0
	s_delay_alu instid0(SALU_CYCLE_1)
	s_and_saveexec_b32 s0, s1
	s_cbranch_execz .LBB8_5
; %bb.15:                               ;   in Loop: Header=BB8_6 Depth=1
	v_lshrrev_b32_e32 v9, 28, v9
	v_lshlrev_b32_e32 v10, 2, v10
	s_delay_alu instid0(VALU_DEP_2) | instskip(NEXT) | instid1(VALU_DEP_2)
	v_add_nc_u32_e32 v9, v8, v9
	v_sub_nc_u32_e32 v8, v8, v10
	s_delay_alu instid0(VALU_DEP_2) | instskip(NEXT) | instid1(VALU_DEP_1)
	v_lshrrev_b32_e32 v9, 2, v9
	v_and_b32_e32 v9, 0x3ffffffc, v9
	s_delay_alu instid0(VALU_DEP_1) | instskip(NEXT) | instid1(VALU_DEP_1)
	v_add_nc_u32_e32 v8, v9, v8
	v_lshl_add_u32 v8, v8, 2, v0
	ds_store_b32 v8, v7
	s_branch .LBB8_5
.LBB8_16:                               ;   in Loop: Header=BB8_6 Depth=1
	v_cmp_eq_f32_e64 s0, v9, v10
	s_waitcnt lgkmcnt(0)
	v_cmp_lt_i32_e64 s1, v11, v8
	s_delay_alu instid0(VALU_DEP_1) | instskip(SKIP_2) | instid1(SALU_CYCLE_1)
	s_and_b32 s0, s0, s1
	s_and_not1_b32 s1, s2, exec_lo
	s_and_b32 s0, s0, exec_lo
	s_or_b32 s2, s1, s0
	s_or_b32 exec_lo, exec_lo, s3
	s_and_saveexec_b32 s0, s2
	s_cbranch_execz .LBB8_12
.LBB8_17:                               ;   in Loop: Header=BB8_6 Depth=1
	s_waitcnt lgkmcnt(0)
	v_dual_mov_b32 v9, v10 :: v_dual_mov_b32 v8, v11
	s_or_b32 exec_lo, exec_lo, s0
	s_and_saveexec_b32 s2, vcc_lo
	s_cbranch_execnz .LBB8_13
	s_branch .LBB8_14
.LBB8_18:
	s_nop 0
	s_sendmsg sendmsg(MSG_DEALLOC_VGPRS)
	s_endpgm
	.section	.rodata,"a",@progbits
	.p2align	6, 0x0
	.amdhsa_kernel _ZN4vllm3moe17topkGatingSoftmaxILi4ELi16ELi4ELi16ELi64EiEEvPKfPKbPfiPT4_Piiii
		.amdhsa_group_segment_fixed_size 4096
		.amdhsa_private_segment_fixed_size 0
		.amdhsa_kernarg_size 60
		.amdhsa_user_sgpr_count 15
		.amdhsa_user_sgpr_dispatch_ptr 1
		.amdhsa_user_sgpr_queue_ptr 0
		.amdhsa_user_sgpr_kernarg_segment_ptr 1
		.amdhsa_user_sgpr_dispatch_id 0
		.amdhsa_user_sgpr_private_segment_size 0
		.amdhsa_wavefront_size32 1
		.amdhsa_uses_dynamic_stack 0
		.amdhsa_enable_private_segment 0
		.amdhsa_system_sgpr_workgroup_id_x 1
		.amdhsa_system_sgpr_workgroup_id_y 0
		.amdhsa_system_sgpr_workgroup_id_z 0
		.amdhsa_system_sgpr_workgroup_info 0
		.amdhsa_system_vgpr_workitem_id 2
		.amdhsa_next_free_vgpr 23
		.amdhsa_next_free_sgpr 16
		.amdhsa_reserve_vcc 1
		.amdhsa_float_round_mode_32 0
		.amdhsa_float_round_mode_16_64 0
		.amdhsa_float_denorm_mode_32 3
		.amdhsa_float_denorm_mode_16_64 3
		.amdhsa_dx10_clamp 1
		.amdhsa_ieee_mode 1
		.amdhsa_fp16_overflow 0
		.amdhsa_workgroup_processor_mode 1
		.amdhsa_memory_ordered 1
		.amdhsa_forward_progress 0
		.amdhsa_shared_vgpr_count 0
		.amdhsa_exception_fp_ieee_invalid_op 0
		.amdhsa_exception_fp_denorm_src 0
		.amdhsa_exception_fp_ieee_div_zero 0
		.amdhsa_exception_fp_ieee_overflow 0
		.amdhsa_exception_fp_ieee_underflow 0
		.amdhsa_exception_fp_ieee_inexact 0
		.amdhsa_exception_int_div_zero 0
	.end_amdhsa_kernel
	.section	.text._ZN4vllm3moe17topkGatingSoftmaxILi4ELi16ELi4ELi16ELi64EiEEvPKfPKbPfiPT4_Piiii,"axG",@progbits,_ZN4vllm3moe17topkGatingSoftmaxILi4ELi16ELi4ELi16ELi64EiEEvPKfPKbPfiPT4_Piiii,comdat
.Lfunc_end8:
	.size	_ZN4vllm3moe17topkGatingSoftmaxILi4ELi16ELi4ELi16ELi64EiEEvPKfPKbPfiPT4_Piiii, .Lfunc_end8-_ZN4vllm3moe17topkGatingSoftmaxILi4ELi16ELi4ELi16ELi64EiEEvPKfPKbPfiPT4_Piiii
                                        ; -- End function
	.section	.AMDGPU.csdata,"",@progbits
; Kernel info:
; codeLenInByte = 1744
; NumSgprs: 18
; NumVgprs: 23
; ScratchSize: 0
; MemoryBound: 0
; FloatMode: 240
; IeeeMode: 1
; LDSByteSize: 4096 bytes/workgroup (compile time only)
; SGPRBlocks: 2
; VGPRBlocks: 2
; NumSGPRsForWavesPerEU: 18
; NumVGPRsForWavesPerEU: 23
; Occupancy: 16
; WaveLimiterHint : 0
; COMPUTE_PGM_RSRC2:SCRATCH_EN: 0
; COMPUTE_PGM_RSRC2:USER_SGPR: 15
; COMPUTE_PGM_RSRC2:TRAP_HANDLER: 0
; COMPUTE_PGM_RSRC2:TGID_X_EN: 1
; COMPUTE_PGM_RSRC2:TGID_Y_EN: 0
; COMPUTE_PGM_RSRC2:TGID_Z_EN: 0
; COMPUTE_PGM_RSRC2:TIDIG_COMP_CNT: 2
	.section	.text._ZN4vllm3moe17topkGatingSoftmaxILi4ELi16ELi4ELi16ELi32EiEEvPKfPKbPfiPT4_Piiii,"axG",@progbits,_ZN4vllm3moe17topkGatingSoftmaxILi4ELi16ELi4ELi16ELi32EiEEvPKfPKbPfiPT4_Piiii,comdat
	.protected	_ZN4vllm3moe17topkGatingSoftmaxILi4ELi16ELi4ELi16ELi32EiEEvPKfPKbPfiPT4_Piiii ; -- Begin function _ZN4vllm3moe17topkGatingSoftmaxILi4ELi16ELi4ELi16ELi32EiEEvPKfPKbPfiPT4_Piiii
	.globl	_ZN4vllm3moe17topkGatingSoftmaxILi4ELi16ELi4ELi16ELi32EiEEvPKfPKbPfiPT4_Piiii
	.p2align	8
	.type	_ZN4vllm3moe17topkGatingSoftmaxILi4ELi16ELi4ELi16ELi32EiEEvPKfPKbPfiPT4_Piiii,@function
_ZN4vllm3moe17topkGatingSoftmaxILi4ELi16ELi4ELi16ELi32EiEEvPKfPKbPfiPT4_Piiii: ; @_ZN4vllm3moe17topkGatingSoftmaxILi4ELi16ELi4ELi16ELi32EiEEvPKfPKbPfiPT4_Piiii
; %bb.0:
	s_load_b32 s14, s[2:3], 0x18
	v_bfe_u32 v6, v0, 10, 10
	v_and_b32_e32 v5, 0x3ff, v0
	s_lshl_b32 s4, s15, 5
	s_delay_alu instid0(VALU_DEP_2) | instskip(NEXT) | instid1(VALU_DEP_2)
	v_lshlrev_b32_e32 v1, 3, v6
	v_lshrrev_b32_e32 v2, 2, v5
	s_delay_alu instid0(VALU_DEP_1) | instskip(SKIP_2) | instid1(VALU_DEP_1)
	v_add3_u32 v1, s4, v1, v2
	s_mov_b32 s4, exec_lo
	s_waitcnt lgkmcnt(0)
	v_cmpx_gt_i32_e64 s14, v1
	s_cbranch_execz .LBB9_18
; %bb.1:
	s_clause 0x1
	s_load_b128 s[4:7], s[2:3], 0x0
	s_load_b64 s[12:13], s[2:3], 0x10
	s_mov_b32 s15, -1
	s_waitcnt lgkmcnt(0)
	s_cmp_eq_u64 s[6:7], 0
	s_cbranch_scc1 .LBB9_3
; %bb.2:
	v_ashrrev_i32_e32 v3, 31, v1
	v_add_co_u32 v2, vcc_lo, s6, v1
	s_delay_alu instid0(VALU_DEP_2) | instskip(SKIP_3) | instid1(VALU_DEP_1)
	v_add_co_ci_u32_e32 v3, vcc_lo, s7, v3, vcc_lo
	global_load_u8 v2, v[2:3], off
	s_waitcnt vmcnt(0)
	v_and_b32_e32 v2, 1, v2
	v_cmp_eq_u32_e32 vcc_lo, 1, v2
	s_xor_b32 s6, vcc_lo, -1
	s_delay_alu instid0(SALU_CYCLE_1)
	s_or_not1_b32 s15, s6, exec_lo
.LBB9_3:
	v_lshlrev_b32_e32 v3, 4, v1
	v_and_b32_e32 v2, 3, v5
	s_load_b64 s[0:1], s[0:1], 0x4
	v_bfe_u32 v0, v0, 20, 10
	s_delay_alu instid0(VALU_DEP_3) | instskip(NEXT) | instid1(VALU_DEP_3)
	v_ashrrev_i32_e32 v4, 31, v3
	v_lshlrev_b32_e32 v7, 4, v2
	s_delay_alu instid0(VALU_DEP_2) | instskip(NEXT) | instid1(VALU_DEP_1)
	v_lshlrev_b64 v[3:4], 2, v[3:4]
	v_add_co_u32 v3, vcc_lo, s4, v3
	s_delay_alu instid0(VALU_DEP_2) | instskip(SKIP_1) | instid1(VALU_DEP_2)
	v_add_co_ci_u32_e32 v4, vcc_lo, s5, v4, vcc_lo
	s_load_b128 s[4:7], s[2:3], 0x30
	v_add_co_u32 v3, vcc_lo, v3, v7
	s_delay_alu instid0(VALU_DEP_2)
	v_add_co_ci_u32_e32 v4, vcc_lo, 0, v4, vcc_lo
	s_waitcnt lgkmcnt(0)
	v_mul_u32_u24_e32 v6, s1, v6
	s_lshr_b32 s0, s0, 16
	s_mov_b32 s7, 0
	global_load_b128 v[7:10], v[3:4], off
	v_mbcnt_lo_u32_b32 v4, -1, 0
	s_mul_i32 s0, s0, s1
	s_delay_alu instid0(SALU_CYCLE_1) | instskip(NEXT) | instid1(VALU_DEP_2)
	v_mad_u32_u24 v5, s0, v5, v6
	v_and_b32_e32 v3, 28, v4
	v_xor_b32_e32 v11, 2, v4
	v_xor_b32_e32 v14, 1, v4
	s_delay_alu instid0(VALU_DEP_4) | instskip(NEXT) | instid1(VALU_DEP_4)
	v_add_lshl_u32 v0, v5, v0, 4
	v_add_nc_u32_e32 v12, 4, v3
	s_cmp_lt_i32 s4, 1
	s_delay_alu instid0(VALU_DEP_1) | instskip(SKIP_3) | instid1(VALU_DEP_1)
	v_cmp_lt_i32_e32 vcc_lo, v11, v12
	v_cndmask_b32_e32 v11, v4, v11, vcc_lo
	v_cmp_lt_i32_e32 vcc_lo, v14, v12
	v_cndmask_b32_e32 v4, v4, v14, vcc_lo
	v_lshlrev_b32_e32 v4, 2, v4
	s_waitcnt vmcnt(0)
	v_max_f32_e32 v3, v8, v8
	v_max_f32_e32 v13, v7, v7
	s_delay_alu instid0(VALU_DEP_1) | instskip(SKIP_1) | instid1(VALU_DEP_2)
	v_max_f32_e32 v13, v13, v3
	v_lshlrev_b32_e32 v3, 2, v11
	v_max3_f32 v11, v13, v9, v10
	ds_bpermute_b32 v13, v3, v11
	s_waitcnt lgkmcnt(0)
	v_max_f32_e32 v12, v13, v13
	s_delay_alu instid0(VALU_DEP_1) | instskip(SKIP_3) | instid1(VALU_DEP_1)
	v_max_f32_e32 v11, v11, v12
	ds_bpermute_b32 v12, v4, v11
	s_waitcnt lgkmcnt(0)
	v_max_f32_e32 v12, v12, v12
	v_max_f32_e32 v11, v11, v12
	s_delay_alu instid0(VALU_DEP_1) | instskip(NEXT) | instid1(VALU_DEP_1)
	v_sub_f32_e32 v10, v10, v11
	v_mul_f32_e32 v14, 0x3fb8aa3b, v10
	s_delay_alu instid0(VALU_DEP_1) | instskip(SKIP_1) | instid1(VALU_DEP_2)
	v_rndne_f32_e32 v22, v14
	v_fma_f32 v21, 0x3fb8aa3b, v10, -v14
	v_sub_f32_e32 v14, v14, v22
	s_delay_alu instid0(VALU_DEP_2) | instskip(NEXT) | instid1(VALU_DEP_1)
	v_dual_sub_f32 v8, v8, v11 :: v_dual_fmac_f32 v21, 0x32a5705f, v10
	v_dual_sub_f32 v9, v9, v11 :: v_dual_mul_f32 v12, 0x3fb8aa3b, v8
	s_delay_alu instid0(VALU_DEP_2) | instskip(NEXT) | instid1(VALU_DEP_2)
	v_add_f32_e32 v14, v14, v21
	v_mul_f32_e32 v13, 0x3fb8aa3b, v9
	s_delay_alu instid0(VALU_DEP_3) | instskip(SKIP_1) | instid1(VALU_DEP_3)
	v_fma_f32 v17, 0x3fb8aa3b, v8, -v12
	v_rndne_f32_e32 v18, v12
	v_fma_f32 v19, 0x3fb8aa3b, v9, -v13
	v_rndne_f32_e32 v20, v13
	v_exp_f32_e32 v14, v14
	s_delay_alu instid0(VALU_DEP_3) | instskip(SKIP_2) | instid1(VALU_DEP_3)
	v_dual_fmac_f32 v17, 0x32a5705f, v8 :: v_dual_sub_f32 v12, v12, v18
	v_sub_f32_e32 v7, v7, v11
	v_fmac_f32_e32 v19, 0x32a5705f, v9
	v_dual_sub_f32 v13, v13, v20 :: v_dual_add_f32 v12, v12, v17
	s_delay_alu instid0(VALU_DEP_3) | instskip(SKIP_1) | instid1(VALU_DEP_3)
	v_mul_f32_e32 v11, 0x3fb8aa3b, v7
	v_cmp_ngt_f32_e32 vcc_lo, 0xc2ce8ed0, v7
	v_add_f32_e32 v13, v13, v19
	v_cvt_i32_f32_e32 v17, v20
	v_exp_f32_e32 v12, v12
	v_fma_f32 v15, 0x3fb8aa3b, v7, -v11
	v_rndne_f32_e32 v16, v11
	v_exp_f32_e32 v13, v13
	s_delay_alu instid0(VALU_DEP_2) | instskip(NEXT) | instid1(VALU_DEP_2)
	v_fmac_f32_e32 v15, 0x32a5705f, v7
	v_sub_f32_e32 v11, v11, v16
	s_delay_alu instid0(VALU_DEP_1)
	v_add_f32_e32 v11, v11, v15
	v_cvt_i32_f32_e32 v15, v16
	v_cvt_i32_f32_e32 v16, v18
	s_waitcnt_depctr 0xfff
	v_ldexp_f32 v13, v13, v17
	v_cvt_i32_f32_e32 v18, v22
	v_exp_f32_e32 v11, v11
	v_ldexp_f32 v12, v12, v16
	s_delay_alu instid0(VALU_DEP_2) | instskip(SKIP_2) | instid1(VALU_DEP_1)
	v_ldexp_f32 v14, v14, v18
	s_waitcnt_depctr 0xfff
	v_ldexp_f32 v11, v11, v15
	v_cndmask_b32_e32 v11, 0, v11, vcc_lo
	v_cmp_ngt_f32_e32 vcc_lo, 0xc2ce8ed0, v8
	v_cndmask_b32_e32 v12, 0, v12, vcc_lo
	v_cmp_ngt_f32_e32 vcc_lo, 0xc2ce8ed0, v9
	v_cndmask_b32_e32 v13, 0, v13, vcc_lo
	v_cmp_nlt_f32_e32 vcc_lo, 0x42b17218, v7
	v_cndmask_b32_e32 v7, 0x7f800000, v11, vcc_lo
	v_cmp_nlt_f32_e32 vcc_lo, 0x42b17218, v8
	v_cndmask_b32_e32 v8, 0x7f800000, v12, vcc_lo
	v_cmp_ngt_f32_e32 vcc_lo, 0xc2ce8ed0, v10
	s_delay_alu instid0(VALU_DEP_2) | instskip(SKIP_3) | instid1(VALU_DEP_2)
	v_dual_add_f32 v12, v7, v8 :: v_dual_cndmask_b32 v11, 0, v14
	v_cmp_nlt_f32_e32 vcc_lo, 0x42b17218, v9
	v_cndmask_b32_e32 v9, 0x7f800000, v13, vcc_lo
	v_cmp_nlt_f32_e32 vcc_lo, 0x42b17218, v10
	v_dual_cndmask_b32 v10, 0x7f800000, v11 :: v_dual_add_f32 v11, v12, v9
	s_delay_alu instid0(VALU_DEP_1)
	v_add_f32_e32 v11, v11, v10
	ds_bpermute_b32 v12, v3, v11
	s_waitcnt lgkmcnt(0)
	v_add_f32_e32 v11, v11, v12
	ds_bpermute_b32 v12, v4, v11
	s_waitcnt lgkmcnt(0)
	v_add_f32_e32 v11, v11, v12
	s_delay_alu instid0(VALU_DEP_1) | instskip(SKIP_1) | instid1(VALU_DEP_2)
	v_div_scale_f32 v12, null, v11, v11, 1.0
	v_div_scale_f32 v15, vcc_lo, 1.0, v11, 1.0
	v_rcp_f32_e32 v13, v12
	s_waitcnt_depctr 0xfff
	v_fma_f32 v14, -v12, v13, 1.0
	s_delay_alu instid0(VALU_DEP_1) | instskip(NEXT) | instid1(VALU_DEP_1)
	v_fmac_f32_e32 v13, v14, v13
	v_mul_f32_e32 v14, v15, v13
	s_delay_alu instid0(VALU_DEP_1) | instskip(NEXT) | instid1(VALU_DEP_1)
	v_fma_f32 v16, -v12, v14, v15
	v_fmac_f32_e32 v14, v16, v13
	s_delay_alu instid0(VALU_DEP_1) | instskip(NEXT) | instid1(VALU_DEP_1)
	v_fma_f32 v12, -v12, v14, v15
	v_div_fmas_f32 v12, v12, v13, v14
	s_delay_alu instid0(VALU_DEP_1) | instskip(NEXT) | instid1(VALU_DEP_1)
	v_div_fixup_f32 v11, v12, v11, 1.0
	v_mul_f32_e32 v5, v11, v7
	v_mul_f32_e32 v6, v11, v8
	;; [unrolled: 1-line block ×4, first 2 shown]
	ds_store_b128 v0, v[5:8]
	s_cbranch_scc1 .LBB9_18
; %bb.4:
	s_load_b128 s[8:11], s[2:3], 0x20
	v_mul_lo_u32 v5, v1, s4
	v_dual_mov_b32 v7, 0xc61c4000 :: v_dual_lshlrev_b32 v6, 2, v2
	v_cmp_eq_u32_e32 vcc_lo, 0, v2
	s_branch .LBB9_6
.LBB9_5:                                ;   in Loop: Header=BB9_6 Depth=1
	s_or_b32 exec_lo, exec_lo, s0
	v_add_nc_u32_e32 v1, s14, v1
	s_cmp_lg_u32 s4, s7
	s_cbranch_scc0 .LBB9_18
.LBB9_6:                                ; =>This Inner Loop Header: Depth=1
	ds_load_b128 v[8:11], v0
	s_mov_b32 s3, exec_lo
	s_waitcnt lgkmcnt(0)
	v_cmp_gt_f32_e64 s0, v9, v8
	s_delay_alu instid0(VALU_DEP_1) | instskip(SKIP_1) | instid1(VALU_DEP_2)
	v_cndmask_b32_e64 v8, v8, v9, s0
	v_cndmask_b32_e64 v9, 0, 1, s0
	v_cmp_gt_f32_e64 s0, v10, v8
	s_delay_alu instid0(VALU_DEP_1) | instskip(NEXT) | instid1(VALU_DEP_3)
	v_cndmask_b32_e64 v8, v8, v10, s0
	v_cndmask_b32_e64 v10, v9, 2, s0
	s_delay_alu instid0(VALU_DEP_2) | instskip(NEXT) | instid1(VALU_DEP_1)
	v_cmp_gt_f32_e64 s0, v11, v8
	v_cndmask_b32_e64 v9, v8, v11, s0
	s_delay_alu instid0(VALU_DEP_3)
	v_cndmask_b32_e64 v8, v10, 3, s0
	ds_bpermute_b32 v10, v3, v9
	v_or_b32_e32 v8, v6, v8
	ds_bpermute_b32 v11, v3, v8
	s_waitcnt lgkmcnt(1)
	v_cmp_lt_f32_e64 s2, v9, v10
	v_cmpx_nlt_f32_e32 v9, v10
	s_cbranch_execz .LBB9_8
; %bb.7:                                ;   in Loop: Header=BB9_6 Depth=1
	v_cmp_eq_f32_e64 s0, v9, v10
	s_waitcnt lgkmcnt(0)
	v_cmp_lt_i32_e64 s1, v11, v8
	s_delay_alu instid0(VALU_DEP_1) | instskip(SKIP_2) | instid1(SALU_CYCLE_1)
	s_and_b32 s0, s0, s1
	s_and_not1_b32 s1, s2, exec_lo
	s_and_b32 s0, s0, exec_lo
	s_or_b32 s2, s1, s0
.LBB9_8:                                ;   in Loop: Header=BB9_6 Depth=1
	s_or_b32 exec_lo, exec_lo, s3
	s_delay_alu instid0(VALU_DEP_2)
	s_and_saveexec_b32 s0, s2
	s_cbranch_execz .LBB9_10
; %bb.9:                                ;   in Loop: Header=BB9_6 Depth=1
	s_waitcnt lgkmcnt(0)
	v_dual_mov_b32 v9, v10 :: v_dual_mov_b32 v8, v11
.LBB9_10:                               ;   in Loop: Header=BB9_6 Depth=1
	s_or_b32 exec_lo, exec_lo, s0
	ds_bpermute_b32 v10, v4, v9
	s_waitcnt lgkmcnt(1)
	ds_bpermute_b32 v11, v4, v8
	s_mov_b32 s3, exec_lo
	s_waitcnt lgkmcnt(1)
	v_cmp_lt_f32_e64 s2, v9, v10
	v_cmpx_nlt_f32_e32 v9, v10
	s_cbranch_execnz .LBB9_16
; %bb.11:                               ;   in Loop: Header=BB9_6 Depth=1
	s_or_b32 exec_lo, exec_lo, s3
	s_delay_alu instid0(VALU_DEP_2)
	s_and_saveexec_b32 s0, s2
	s_cbranch_execnz .LBB9_17
.LBB9_12:                               ;   in Loop: Header=BB9_6 Depth=1
	s_or_b32 exec_lo, exec_lo, s0
	s_and_saveexec_b32 s2, vcc_lo
	s_cbranch_execz .LBB9_14
.LBB9_13:                               ;   in Loop: Header=BB9_6 Depth=1
	v_add_nc_u32_e32 v10, s7, v5
	v_cmp_le_i32_e64 s0, s5, v8
	v_cmp_gt_i32_e64 s1, s6, v8
	v_subrev_nc_u32_e32 v12, s5, v8
	s_waitcnt lgkmcnt(0)
	v_ashrrev_i32_e32 v11, 31, v10
	s_delay_alu instid0(VALU_DEP_3) | instskip(NEXT) | instid1(SALU_CYCLE_1)
	s_and_b32 s0, s0, s1
	s_and_b32 s0, s15, s0
	s_delay_alu instid0(VALU_DEP_1) | instskip(SKIP_1) | instid1(VALU_DEP_2)
	v_lshlrev_b64 v[10:11], 2, v[10:11]
	v_cndmask_b32_e64 v16, 16, v12, s0
	v_add_co_u32 v12, s0, s12, v10
	s_delay_alu instid0(VALU_DEP_1) | instskip(SKIP_1) | instid1(VALU_DEP_1)
	v_add_co_ci_u32_e64 v13, s0, s13, v11, s0
	v_add_co_u32 v14, s0, s8, v10
	v_add_co_ci_u32_e64 v15, s0, s9, v11, s0
	v_add_co_u32 v10, s0, s10, v10
	s_delay_alu instid0(VALU_DEP_1)
	v_add_co_ci_u32_e64 v11, s0, s11, v11, s0
	global_store_b32 v[12:13], v9, off
	global_store_b32 v[14:15], v16, off
	;; [unrolled: 1-line block ×3, first 2 shown]
.LBB9_14:                               ;   in Loop: Header=BB9_6 Depth=1
	s_or_b32 exec_lo, exec_lo, s2
	v_ashrrev_i32_e32 v9, 31, v8
	s_add_i32 s7, s7, 1
	s_delay_alu instid0(SALU_CYCLE_1) | instskip(SKIP_1) | instid1(VALU_DEP_1)
	s_cmp_lt_i32 s7, s4
	s_cselect_b32 s1, -1, 0
	v_lshrrev_b32_e32 v10, 30, v9
	s_delay_alu instid0(VALU_DEP_1) | instskip(NEXT) | instid1(VALU_DEP_1)
	v_add_nc_u32_e32 v10, v8, v10
	v_ashrrev_i32_e32 v10, 2, v10
	s_waitcnt lgkmcnt(0)
	s_delay_alu instid0(VALU_DEP_1) | instskip(NEXT) | instid1(VALU_DEP_1)
	v_lshrrev_b32_e32 v11, 30, v10
	v_add_nc_u32_e32 v11, v10, v11
	s_delay_alu instid0(VALU_DEP_1) | instskip(NEXT) | instid1(VALU_DEP_1)
	v_and_b32_e32 v11, -4, v11
	v_sub_nc_u32_e32 v11, v10, v11
	s_delay_alu instid0(VALU_DEP_1) | instskip(NEXT) | instid1(VALU_DEP_1)
	v_cmp_eq_u32_e64 s0, v2, v11
	s_and_b32 s1, s1, s0
	s_delay_alu instid0(SALU_CYCLE_1)
	s_and_saveexec_b32 s0, s1
	s_cbranch_execz .LBB9_5
; %bb.15:                               ;   in Loop: Header=BB9_6 Depth=1
	v_lshrrev_b32_e32 v9, 28, v9
	v_lshlrev_b32_e32 v10, 2, v10
	s_delay_alu instid0(VALU_DEP_2) | instskip(NEXT) | instid1(VALU_DEP_2)
	v_add_nc_u32_e32 v9, v8, v9
	v_sub_nc_u32_e32 v8, v8, v10
	s_delay_alu instid0(VALU_DEP_2) | instskip(NEXT) | instid1(VALU_DEP_1)
	v_lshrrev_b32_e32 v9, 2, v9
	v_and_b32_e32 v9, 0x3ffffffc, v9
	s_delay_alu instid0(VALU_DEP_1) | instskip(NEXT) | instid1(VALU_DEP_1)
	v_add_nc_u32_e32 v8, v9, v8
	v_lshl_add_u32 v8, v8, 2, v0
	ds_store_b32 v8, v7
	s_branch .LBB9_5
.LBB9_16:                               ;   in Loop: Header=BB9_6 Depth=1
	v_cmp_eq_f32_e64 s0, v9, v10
	s_waitcnt lgkmcnt(0)
	v_cmp_lt_i32_e64 s1, v11, v8
	s_delay_alu instid0(VALU_DEP_1) | instskip(SKIP_2) | instid1(SALU_CYCLE_1)
	s_and_b32 s0, s0, s1
	s_and_not1_b32 s1, s2, exec_lo
	s_and_b32 s0, s0, exec_lo
	s_or_b32 s2, s1, s0
	s_or_b32 exec_lo, exec_lo, s3
	s_and_saveexec_b32 s0, s2
	s_cbranch_execz .LBB9_12
.LBB9_17:                               ;   in Loop: Header=BB9_6 Depth=1
	s_waitcnt lgkmcnt(0)
	v_dual_mov_b32 v9, v10 :: v_dual_mov_b32 v8, v11
	s_or_b32 exec_lo, exec_lo, s0
	s_and_saveexec_b32 s2, vcc_lo
	s_cbranch_execnz .LBB9_13
	s_branch .LBB9_14
.LBB9_18:
	s_nop 0
	s_sendmsg sendmsg(MSG_DEALLOC_VGPRS)
	s_endpgm
	.section	.rodata,"a",@progbits
	.p2align	6, 0x0
	.amdhsa_kernel _ZN4vllm3moe17topkGatingSoftmaxILi4ELi16ELi4ELi16ELi32EiEEvPKfPKbPfiPT4_Piiii
		.amdhsa_group_segment_fixed_size 2048
		.amdhsa_private_segment_fixed_size 0
		.amdhsa_kernarg_size 60
		.amdhsa_user_sgpr_count 15
		.amdhsa_user_sgpr_dispatch_ptr 1
		.amdhsa_user_sgpr_queue_ptr 0
		.amdhsa_user_sgpr_kernarg_segment_ptr 1
		.amdhsa_user_sgpr_dispatch_id 0
		.amdhsa_user_sgpr_private_segment_size 0
		.amdhsa_wavefront_size32 1
		.amdhsa_uses_dynamic_stack 0
		.amdhsa_enable_private_segment 0
		.amdhsa_system_sgpr_workgroup_id_x 1
		.amdhsa_system_sgpr_workgroup_id_y 0
		.amdhsa_system_sgpr_workgroup_id_z 0
		.amdhsa_system_sgpr_workgroup_info 0
		.amdhsa_system_vgpr_workitem_id 2
		.amdhsa_next_free_vgpr 23
		.amdhsa_next_free_sgpr 16
		.amdhsa_reserve_vcc 1
		.amdhsa_float_round_mode_32 0
		.amdhsa_float_round_mode_16_64 0
		.amdhsa_float_denorm_mode_32 3
		.amdhsa_float_denorm_mode_16_64 3
		.amdhsa_dx10_clamp 1
		.amdhsa_ieee_mode 1
		.amdhsa_fp16_overflow 0
		.amdhsa_workgroup_processor_mode 1
		.amdhsa_memory_ordered 1
		.amdhsa_forward_progress 0
		.amdhsa_shared_vgpr_count 0
		.amdhsa_exception_fp_ieee_invalid_op 0
		.amdhsa_exception_fp_denorm_src 0
		.amdhsa_exception_fp_ieee_div_zero 0
		.amdhsa_exception_fp_ieee_overflow 0
		.amdhsa_exception_fp_ieee_underflow 0
		.amdhsa_exception_fp_ieee_inexact 0
		.amdhsa_exception_int_div_zero 0
	.end_amdhsa_kernel
	.section	.text._ZN4vllm3moe17topkGatingSoftmaxILi4ELi16ELi4ELi16ELi32EiEEvPKfPKbPfiPT4_Piiii,"axG",@progbits,_ZN4vllm3moe17topkGatingSoftmaxILi4ELi16ELi4ELi16ELi32EiEEvPKfPKbPfiPT4_Piiii,comdat
.Lfunc_end9:
	.size	_ZN4vllm3moe17topkGatingSoftmaxILi4ELi16ELi4ELi16ELi32EiEEvPKfPKbPfiPT4_Piiii, .Lfunc_end9-_ZN4vllm3moe17topkGatingSoftmaxILi4ELi16ELi4ELi16ELi32EiEEvPKfPKbPfiPT4_Piiii
                                        ; -- End function
	.section	.AMDGPU.csdata,"",@progbits
; Kernel info:
; codeLenInByte = 1740
; NumSgprs: 18
; NumVgprs: 23
; ScratchSize: 0
; MemoryBound: 0
; FloatMode: 240
; IeeeMode: 1
; LDSByteSize: 2048 bytes/workgroup (compile time only)
; SGPRBlocks: 2
; VGPRBlocks: 2
; NumSGPRsForWavesPerEU: 18
; NumVGPRsForWavesPerEU: 23
; Occupancy: 16
; WaveLimiterHint : 0
; COMPUTE_PGM_RSRC2:SCRATCH_EN: 0
; COMPUTE_PGM_RSRC2:USER_SGPR: 15
; COMPUTE_PGM_RSRC2:TRAP_HANDLER: 0
; COMPUTE_PGM_RSRC2:TGID_X_EN: 1
; COMPUTE_PGM_RSRC2:TGID_Y_EN: 0
; COMPUTE_PGM_RSRC2:TGID_Z_EN: 0
; COMPUTE_PGM_RSRC2:TIDIG_COMP_CNT: 2
	.section	.text._ZN4vllm3moe17topkGatingSoftmaxILi4ELi32ELi4ELi16ELi64EiEEvPKfPKbPfiPT4_Piiii,"axG",@progbits,_ZN4vllm3moe17topkGatingSoftmaxILi4ELi32ELi4ELi16ELi64EiEEvPKfPKbPfiPT4_Piiii,comdat
	.protected	_ZN4vllm3moe17topkGatingSoftmaxILi4ELi32ELi4ELi16ELi64EiEEvPKfPKbPfiPT4_Piiii ; -- Begin function _ZN4vllm3moe17topkGatingSoftmaxILi4ELi32ELi4ELi16ELi64EiEEvPKfPKbPfiPT4_Piiii
	.globl	_ZN4vllm3moe17topkGatingSoftmaxILi4ELi32ELi4ELi16ELi64EiEEvPKfPKbPfiPT4_Piiii
	.p2align	8
	.type	_ZN4vllm3moe17topkGatingSoftmaxILi4ELi32ELi4ELi16ELi64EiEEvPKfPKbPfiPT4_Piiii,@function
_ZN4vllm3moe17topkGatingSoftmaxILi4ELi32ELi4ELi16ELi64EiEEvPKfPKbPfiPT4_Piiii: ; @_ZN4vllm3moe17topkGatingSoftmaxILi4ELi32ELi4ELi16ELi64EiEEvPKfPKbPfiPT4_Piiii
; %bb.0:
	s_load_b32 s14, s[2:3], 0x18
	v_bfe_u32 v6, v0, 10, 10
	v_and_b32_e32 v7, 0x3ff, v0
	s_lshl_b32 s4, s15, 5
	s_delay_alu instid0(VALU_DEP_2) | instskip(NEXT) | instid1(VALU_DEP_2)
	v_lshlrev_b32_e32 v1, 3, v6
	v_lshrrev_b32_e32 v2, 3, v7
	s_delay_alu instid0(VALU_DEP_1) | instskip(SKIP_2) | instid1(VALU_DEP_1)
	v_add3_u32 v1, s4, v1, v2
	s_mov_b32 s4, exec_lo
	s_waitcnt lgkmcnt(0)
	v_cmpx_gt_i32_e64 s14, v1
	s_cbranch_execz .LBB10_22
; %bb.1:
	s_clause 0x1
	s_load_b128 s[4:7], s[2:3], 0x0
	s_load_b64 s[12:13], s[2:3], 0x10
	s_mov_b32 s15, -1
	s_waitcnt lgkmcnt(0)
	s_cmp_eq_u64 s[6:7], 0
	s_cbranch_scc1 .LBB10_3
; %bb.2:
	v_ashrrev_i32_e32 v3, 31, v1
	v_add_co_u32 v2, vcc_lo, s6, v1
	s_delay_alu instid0(VALU_DEP_2) | instskip(SKIP_3) | instid1(VALU_DEP_1)
	v_add_co_ci_u32_e32 v3, vcc_lo, s7, v3, vcc_lo
	global_load_u8 v2, v[2:3], off
	s_waitcnt vmcnt(0)
	v_and_b32_e32 v2, 1, v2
	v_cmp_eq_u32_e32 vcc_lo, 1, v2
	s_xor_b32 s6, vcc_lo, -1
	s_delay_alu instid0(SALU_CYCLE_1)
	s_or_not1_b32 s15, s6, exec_lo
.LBB10_3:
	v_lshlrev_b32_e32 v3, 5, v1
	v_and_b32_e32 v2, 7, v7
	s_load_b64 s[0:1], s[0:1], 0x4
	v_bfe_u32 v0, v0, 20, 10
	s_delay_alu instid0(VALU_DEP_3) | instskip(NEXT) | instid1(VALU_DEP_3)
	v_ashrrev_i32_e32 v4, 31, v3
	v_lshlrev_b32_e32 v5, 4, v2
	s_delay_alu instid0(VALU_DEP_2) | instskip(NEXT) | instid1(VALU_DEP_1)
	v_lshlrev_b64 v[3:4], 2, v[3:4]
	v_add_co_u32 v3, vcc_lo, s4, v3
	s_delay_alu instid0(VALU_DEP_2) | instskip(SKIP_1) | instid1(VALU_DEP_2)
	v_add_co_ci_u32_e32 v4, vcc_lo, s5, v4, vcc_lo
	s_load_b128 s[4:7], s[2:3], 0x30
	v_add_co_u32 v3, vcc_lo, v3, v5
	s_delay_alu instid0(VALU_DEP_2)
	v_add_co_ci_u32_e32 v4, vcc_lo, 0, v4, vcc_lo
	v_mbcnt_lo_u32_b32 v5, -1, 0
	s_waitcnt lgkmcnt(0)
	s_lshr_b32 s0, s0, 16
	s_mov_b32 s7, 0
	global_load_b128 v[8:11], v[3:4], off
	s_mul_i32 s0, s0, s1
	v_xor_b32_e32 v14, 2, v5
	v_and_b32_e32 v3, 24, v5
	v_xor_b32_e32 v4, 4, v5
	v_mul_lo_u32 v7, s0, v7
	s_delay_alu instid0(VALU_DEP_3) | instskip(SKIP_1) | instid1(VALU_DEP_2)
	v_add_nc_u32_e32 v12, 8, v3
	s_cmp_lt_i32 s4, 1
	v_mad_u32_u24 v6, v6, s1, v7
	s_delay_alu instid0(VALU_DEP_1)
	v_add_lshl_u32 v0, v6, v0, 4
	s_waitcnt vmcnt(0)
	v_max_f32_e32 v13, v8, v8
	v_cmp_lt_i32_e32 vcc_lo, v4, v12
	v_max_f32_e32 v3, v9, v9
	v_cndmask_b32_e32 v4, v5, v4, vcc_lo
	v_cmp_lt_i32_e32 vcc_lo, v14, v12
	v_cndmask_b32_e32 v14, v5, v14, vcc_lo
	s_delay_alu instid0(VALU_DEP_4) | instskip(NEXT) | instid1(VALU_DEP_4)
	v_max_f32_e32 v13, v13, v3
	v_lshlrev_b32_e32 v3, 2, v4
	s_delay_alu instid0(VALU_DEP_2) | instskip(SKIP_3) | instid1(VALU_DEP_1)
	v_max3_f32 v13, v13, v10, v11
	ds_bpermute_b32 v4, v3, v13
	s_waitcnt lgkmcnt(0)
	v_dual_max_f32 v15, v4, v4 :: v_dual_lshlrev_b32 v4, 2, v14
	v_max_f32_e32 v13, v13, v15
	v_xor_b32_e32 v15, 1, v5
	ds_bpermute_b32 v14, v4, v13
	v_cmp_lt_i32_e32 vcc_lo, v15, v12
	s_waitcnt lgkmcnt(0)
	v_max_f32_e32 v12, v14, v14
	s_delay_alu instid0(VALU_DEP_1) | instskip(SKIP_1) | instid1(VALU_DEP_1)
	v_max_f32_e32 v12, v13, v12
	v_cndmask_b32_e32 v5, v5, v15, vcc_lo
	v_lshlrev_b32_e32 v5, 2, v5
	ds_bpermute_b32 v13, v5, v12
	s_waitcnt lgkmcnt(0)
	v_max_f32_e32 v13, v13, v13
	s_delay_alu instid0(VALU_DEP_1) | instskip(NEXT) | instid1(VALU_DEP_1)
	v_max_f32_e32 v12, v12, v13
	v_sub_f32_e32 v8, v8, v12
	v_sub_f32_e32 v9, v9, v12
	;; [unrolled: 1-line block ×4, first 2 shown]
	s_delay_alu instid0(VALU_DEP_4) | instskip(SKIP_1) | instid1(VALU_DEP_4)
	v_mul_f32_e32 v12, 0x3fb8aa3b, v8
	v_cmp_ngt_f32_e32 vcc_lo, 0xc2ce8ed0, v8
	v_mul_f32_e32 v14, 0x3fb8aa3b, v10
	s_delay_alu instid0(VALU_DEP_3) | instskip(SKIP_1) | instid1(VALU_DEP_3)
	v_fma_f32 v16, 0x3fb8aa3b, v8, -v12
	v_rndne_f32_e32 v17, v12
	v_rndne_f32_e32 v21, v14
	v_fma_f32 v20, 0x3fb8aa3b, v10, -v14
	s_delay_alu instid0(VALU_DEP_4) | instskip(NEXT) | instid1(VALU_DEP_4)
	v_fmac_f32_e32 v16, 0x32a5705f, v8
	v_sub_f32_e32 v12, v12, v17
	v_mul_f32_e32 v13, 0x3fb8aa3b, v9
	v_sub_f32_e32 v14, v14, v21
	s_delay_alu instid0(VALU_DEP_3) | instskip(NEXT) | instid1(VALU_DEP_3)
	v_add_f32_e32 v12, v12, v16
	v_fma_f32 v18, 0x3fb8aa3b, v9, -v13
	v_rndne_f32_e32 v19, v13
	v_cvt_i32_f32_e32 v16, v17
	s_delay_alu instid0(VALU_DEP_4) | instskip(NEXT) | instid1(VALU_DEP_3)
	v_exp_f32_e32 v12, v12
	v_fmac_f32_e32 v18, 0x32a5705f, v9
	v_mul_f32_e32 v15, 0x3fb8aa3b, v11
	v_sub_f32_e32 v13, v13, v19
	v_cvt_i32_f32_e32 v17, v19
	s_delay_alu instid0(VALU_DEP_3) | instskip(SKIP_3) | instid1(TRANS32_DEP_1)
	v_fma_f32 v22, 0x3fb8aa3b, v11, -v15
	v_rndne_f32_e32 v23, v15
	v_fmac_f32_e32 v20, 0x32a5705f, v10
	v_add_f32_e32 v13, v13, v18
	v_ldexp_f32 v12, v12, v16
	v_fmac_f32_e32 v22, 0x32a5705f, v11
	s_delay_alu instid0(VALU_DEP_4) | instskip(NEXT) | instid1(VALU_DEP_4)
	v_dual_sub_f32 v15, v15, v23 :: v_dual_add_f32 v14, v14, v20
	v_exp_f32_e32 v13, v13
	v_cvt_i32_f32_e32 v18, v21
	v_cvt_i32_f32_e32 v19, v23
	s_delay_alu instid0(VALU_DEP_3) | instskip(SKIP_1) | instid1(VALU_DEP_1)
	v_add_f32_e32 v15, v15, v22
	v_exp_f32_e32 v14, v14
	v_exp_f32_e32 v15, v15
	s_delay_alu instid0(TRANS32_DEP_3)
	v_ldexp_f32 v13, v13, v17
	v_cndmask_b32_e32 v12, 0, v12, vcc_lo
	v_cmp_ngt_f32_e32 vcc_lo, 0xc2ce8ed0, v9
	s_waitcnt_depctr 0xfff
	v_ldexp_f32 v14, v14, v18
	v_cndmask_b32_e32 v13, 0, v13, vcc_lo
	v_cmp_ngt_f32_e32 vcc_lo, 0xc2ce8ed0, v10
	v_ldexp_f32 v15, v15, v19
	s_delay_alu instid0(VALU_DEP_4)
	v_cndmask_b32_e32 v14, 0, v14, vcc_lo
	v_cmp_nlt_f32_e32 vcc_lo, 0x42b17218, v8
	v_cndmask_b32_e32 v8, 0x7f800000, v12, vcc_lo
	v_cmp_nlt_f32_e32 vcc_lo, 0x42b17218, v9
	v_cndmask_b32_e32 v9, 0x7f800000, v13, vcc_lo
	v_cmp_ngt_f32_e32 vcc_lo, 0xc2ce8ed0, v11
	s_delay_alu instid0(VALU_DEP_2) | instskip(SKIP_3) | instid1(VALU_DEP_2)
	v_dual_add_f32 v13, v8, v9 :: v_dual_cndmask_b32 v12, 0, v15
	v_cmp_nlt_f32_e32 vcc_lo, 0x42b17218, v10
	v_cndmask_b32_e32 v10, 0x7f800000, v14, vcc_lo
	v_cmp_nlt_f32_e32 vcc_lo, 0x42b17218, v11
	v_dual_cndmask_b32 v11, 0x7f800000, v12 :: v_dual_add_f32 v12, v13, v10
	s_delay_alu instid0(VALU_DEP_1)
	v_add_f32_e32 v12, v12, v11
	ds_bpermute_b32 v13, v3, v12
	s_waitcnt lgkmcnt(0)
	v_add_f32_e32 v12, v12, v13
	ds_bpermute_b32 v13, v4, v12
	s_waitcnt lgkmcnt(0)
	;; [unrolled: 3-line block ×3, first 2 shown]
	v_add_f32_e32 v12, v12, v13
	s_delay_alu instid0(VALU_DEP_1) | instskip(SKIP_1) | instid1(VALU_DEP_2)
	v_div_scale_f32 v13, null, v12, v12, 1.0
	v_div_scale_f32 v16, vcc_lo, 1.0, v12, 1.0
	v_rcp_f32_e32 v14, v13
	s_waitcnt_depctr 0xfff
	v_fma_f32 v15, -v13, v14, 1.0
	s_delay_alu instid0(VALU_DEP_1) | instskip(NEXT) | instid1(VALU_DEP_1)
	v_fmac_f32_e32 v14, v15, v14
	v_mul_f32_e32 v15, v16, v14
	s_delay_alu instid0(VALU_DEP_1) | instskip(NEXT) | instid1(VALU_DEP_1)
	v_fma_f32 v17, -v13, v15, v16
	v_fmac_f32_e32 v15, v17, v14
	s_delay_alu instid0(VALU_DEP_1) | instskip(NEXT) | instid1(VALU_DEP_1)
	v_fma_f32 v13, -v13, v15, v16
	v_div_fmas_f32 v13, v13, v14, v15
	s_delay_alu instid0(VALU_DEP_1) | instskip(NEXT) | instid1(VALU_DEP_1)
	v_div_fixup_f32 v12, v13, v12, 1.0
	v_mul_f32_e32 v6, v12, v8
	v_mul_f32_e32 v7, v12, v9
	v_mul_f32_e32 v9, v12, v11
	v_mul_f32_e32 v8, v12, v10
	ds_store_b128 v0, v[6:9]
	s_cbranch_scc1 .LBB10_22
; %bb.4:
	s_load_b128 s[8:11], s[2:3], 0x20
	v_mul_lo_u32 v6, v1, s4
	v_dual_mov_b32 v8, 0xc61c4000 :: v_dual_lshlrev_b32 v7, 2, v2
	v_cmp_eq_u32_e32 vcc_lo, 0, v2
	s_branch .LBB10_6
.LBB10_5:                               ;   in Loop: Header=BB10_6 Depth=1
	s_or_b32 exec_lo, exec_lo, s0
	v_add_nc_u32_e32 v1, s14, v1
	s_cmp_lg_u32 s4, s7
	s_cbranch_scc0 .LBB10_22
.LBB10_6:                               ; =>This Inner Loop Header: Depth=1
	ds_load_b128 v[9:12], v0
	s_mov_b32 s3, exec_lo
	s_waitcnt lgkmcnt(0)
	v_cmp_gt_f32_e64 s0, v10, v9
	s_delay_alu instid0(VALU_DEP_1) | instskip(SKIP_1) | instid1(VALU_DEP_2)
	v_cndmask_b32_e64 v9, v9, v10, s0
	v_cndmask_b32_e64 v10, 0, 1, s0
	v_cmp_gt_f32_e64 s0, v11, v9
	s_delay_alu instid0(VALU_DEP_1) | instskip(NEXT) | instid1(VALU_DEP_3)
	v_cndmask_b32_e64 v9, v9, v11, s0
	v_cndmask_b32_e64 v11, v10, 2, s0
	s_delay_alu instid0(VALU_DEP_2) | instskip(NEXT) | instid1(VALU_DEP_1)
	v_cmp_gt_f32_e64 s0, v12, v9
	v_cndmask_b32_e64 v10, v9, v12, s0
	s_delay_alu instid0(VALU_DEP_3)
	v_cndmask_b32_e64 v9, v11, 3, s0
	ds_bpermute_b32 v11, v3, v10
	v_or_b32_e32 v9, v7, v9
	ds_bpermute_b32 v12, v3, v9
	s_waitcnt lgkmcnt(1)
	v_cmp_lt_f32_e64 s2, v10, v11
	v_cmpx_nlt_f32_e32 v10, v11
	s_cbranch_execz .LBB10_8
; %bb.7:                                ;   in Loop: Header=BB10_6 Depth=1
	v_cmp_eq_f32_e64 s0, v10, v11
	s_waitcnt lgkmcnt(0)
	v_cmp_lt_i32_e64 s1, v12, v9
	s_delay_alu instid0(VALU_DEP_1) | instskip(SKIP_2) | instid1(SALU_CYCLE_1)
	s_and_b32 s0, s0, s1
	s_and_not1_b32 s1, s2, exec_lo
	s_and_b32 s0, s0, exec_lo
	s_or_b32 s2, s1, s0
.LBB10_8:                               ;   in Loop: Header=BB10_6 Depth=1
	s_or_b32 exec_lo, exec_lo, s3
	s_delay_alu instid0(VALU_DEP_2)
	s_and_saveexec_b32 s0, s2
	s_cbranch_execz .LBB10_10
; %bb.9:                                ;   in Loop: Header=BB10_6 Depth=1
	s_waitcnt lgkmcnt(0)
	v_dual_mov_b32 v10, v11 :: v_dual_mov_b32 v9, v12
.LBB10_10:                              ;   in Loop: Header=BB10_6 Depth=1
	s_or_b32 exec_lo, exec_lo, s0
	s_waitcnt lgkmcnt(0)
	ds_bpermute_b32 v12, v4, v10
	ds_bpermute_b32 v11, v4, v9
	s_mov_b32 s3, exec_lo
	s_waitcnt lgkmcnt(1)
	v_cmp_lt_f32_e64 s2, v10, v12
	v_cmpx_nlt_f32_e32 v10, v12
	s_cbranch_execz .LBB10_12
; %bb.11:                               ;   in Loop: Header=BB10_6 Depth=1
	v_cmp_eq_f32_e64 s0, v10, v12
	s_waitcnt lgkmcnt(0)
	v_cmp_lt_i32_e64 s1, v11, v9
	s_delay_alu instid0(VALU_DEP_1) | instskip(SKIP_2) | instid1(SALU_CYCLE_1)
	s_and_b32 s0, s0, s1
	s_and_not1_b32 s1, s2, exec_lo
	s_and_b32 s0, s0, exec_lo
	s_or_b32 s2, s1, s0
.LBB10_12:                              ;   in Loop: Header=BB10_6 Depth=1
	s_or_b32 exec_lo, exec_lo, s3
	s_delay_alu instid0(VALU_DEP_2)
	s_and_saveexec_b32 s0, s2
	s_cbranch_execz .LBB10_14
; %bb.13:                               ;   in Loop: Header=BB10_6 Depth=1
	s_waitcnt lgkmcnt(0)
	v_dual_mov_b32 v10, v12 :: v_dual_mov_b32 v9, v11
.LBB10_14:                              ;   in Loop: Header=BB10_6 Depth=1
	s_or_b32 exec_lo, exec_lo, s0
	s_waitcnt lgkmcnt(0)
	ds_bpermute_b32 v11, v5, v10
	ds_bpermute_b32 v12, v5, v9
	s_mov_b32 s3, exec_lo
	s_waitcnt lgkmcnt(1)
	v_cmp_lt_f32_e64 s2, v10, v11
	v_cmpx_nlt_f32_e32 v10, v11
	s_cbranch_execnz .LBB10_20
; %bb.15:                               ;   in Loop: Header=BB10_6 Depth=1
	s_or_b32 exec_lo, exec_lo, s3
	s_delay_alu instid0(VALU_DEP_2)
	s_and_saveexec_b32 s0, s2
	s_cbranch_execnz .LBB10_21
.LBB10_16:                              ;   in Loop: Header=BB10_6 Depth=1
	s_or_b32 exec_lo, exec_lo, s0
	s_and_saveexec_b32 s2, vcc_lo
	s_cbranch_execz .LBB10_18
.LBB10_17:                              ;   in Loop: Header=BB10_6 Depth=1
	v_add_nc_u32_e32 v11, s7, v6
	v_cmp_le_i32_e64 s0, s5, v9
	v_cmp_gt_i32_e64 s1, s6, v9
	v_subrev_nc_u32_e32 v13, s5, v9
	s_waitcnt lgkmcnt(0)
	v_ashrrev_i32_e32 v12, 31, v11
	s_delay_alu instid0(VALU_DEP_3) | instskip(NEXT) | instid1(SALU_CYCLE_1)
	s_and_b32 s0, s0, s1
	s_and_b32 s0, s15, s0
	s_delay_alu instid0(VALU_DEP_1) | instskip(SKIP_1) | instid1(VALU_DEP_2)
	v_lshlrev_b64 v[11:12], 2, v[11:12]
	v_cndmask_b32_e64 v17, 32, v13, s0
	v_add_co_u32 v13, s0, s12, v11
	s_delay_alu instid0(VALU_DEP_1) | instskip(SKIP_1) | instid1(VALU_DEP_1)
	v_add_co_ci_u32_e64 v14, s0, s13, v12, s0
	v_add_co_u32 v15, s0, s8, v11
	v_add_co_ci_u32_e64 v16, s0, s9, v12, s0
	v_add_co_u32 v11, s0, s10, v11
	s_delay_alu instid0(VALU_DEP_1)
	v_add_co_ci_u32_e64 v12, s0, s11, v12, s0
	global_store_b32 v[13:14], v10, off
	global_store_b32 v[15:16], v17, off
	;; [unrolled: 1-line block ×3, first 2 shown]
.LBB10_18:                              ;   in Loop: Header=BB10_6 Depth=1
	s_or_b32 exec_lo, exec_lo, s2
	v_ashrrev_i32_e32 v11, 31, v9
	s_add_i32 s7, s7, 1
	s_delay_alu instid0(SALU_CYCLE_1) | instskip(SKIP_1) | instid1(VALU_DEP_1)
	s_cmp_lt_i32 s7, s4
	s_cselect_b32 s1, -1, 0
	v_lshrrev_b32_e32 v10, 30, v11
	s_delay_alu instid0(VALU_DEP_1) | instskip(NEXT) | instid1(VALU_DEP_1)
	v_add_nc_u32_e32 v10, v9, v10
	v_ashrrev_i32_e32 v10, 2, v10
	s_waitcnt lgkmcnt(0)
	s_delay_alu instid0(VALU_DEP_1) | instskip(NEXT) | instid1(VALU_DEP_1)
	v_lshrrev_b32_e32 v12, 29, v10
	v_add_nc_u32_e32 v12, v10, v12
	s_delay_alu instid0(VALU_DEP_1) | instskip(NEXT) | instid1(VALU_DEP_1)
	v_and_b32_e32 v12, -8, v12
	v_sub_nc_u32_e32 v12, v10, v12
	s_delay_alu instid0(VALU_DEP_1) | instskip(NEXT) | instid1(VALU_DEP_1)
	v_cmp_eq_u32_e64 s0, v2, v12
	s_and_b32 s1, s1, s0
	s_delay_alu instid0(SALU_CYCLE_1)
	s_and_saveexec_b32 s0, s1
	s_cbranch_execz .LBB10_5
; %bb.19:                               ;   in Loop: Header=BB10_6 Depth=1
	v_lshrrev_b32_e32 v11, 27, v11
	v_lshlrev_b32_e32 v10, 2, v10
	s_delay_alu instid0(VALU_DEP_2) | instskip(NEXT) | instid1(VALU_DEP_2)
	v_add_nc_u32_e32 v11, v9, v11
	v_sub_nc_u32_e32 v9, v9, v10
	s_delay_alu instid0(VALU_DEP_2) | instskip(NEXT) | instid1(VALU_DEP_1)
	v_ashrrev_i32_e32 v11, 5, v11
	v_lshl_add_u32 v9, v11, 2, v9
	s_delay_alu instid0(VALU_DEP_1)
	v_lshl_add_u32 v9, v9, 2, v0
	ds_store_b32 v9, v8
	s_branch .LBB10_5
.LBB10_20:                              ;   in Loop: Header=BB10_6 Depth=1
	v_cmp_eq_f32_e64 s0, v10, v11
	s_waitcnt lgkmcnt(0)
	v_cmp_lt_i32_e64 s1, v12, v9
	s_delay_alu instid0(VALU_DEP_1) | instskip(SKIP_2) | instid1(SALU_CYCLE_1)
	s_and_b32 s0, s0, s1
	s_and_not1_b32 s1, s2, exec_lo
	s_and_b32 s0, s0, exec_lo
	s_or_b32 s2, s1, s0
	s_or_b32 exec_lo, exec_lo, s3
	s_and_saveexec_b32 s0, s2
	s_cbranch_execz .LBB10_16
.LBB10_21:                              ;   in Loop: Header=BB10_6 Depth=1
	s_waitcnt lgkmcnt(0)
	v_dual_mov_b32 v10, v11 :: v_dual_mov_b32 v9, v12
	s_or_b32 exec_lo, exec_lo, s0
	s_and_saveexec_b32 s2, vcc_lo
	s_cbranch_execnz .LBB10_17
	s_branch .LBB10_18
.LBB10_22:
	s_nop 0
	s_sendmsg sendmsg(MSG_DEALLOC_VGPRS)
	s_endpgm
	.section	.rodata,"a",@progbits
	.p2align	6, 0x0
	.amdhsa_kernel _ZN4vllm3moe17topkGatingSoftmaxILi4ELi32ELi4ELi16ELi64EiEEvPKfPKbPfiPT4_Piiii
		.amdhsa_group_segment_fixed_size 4096
		.amdhsa_private_segment_fixed_size 0
		.amdhsa_kernarg_size 60
		.amdhsa_user_sgpr_count 15
		.amdhsa_user_sgpr_dispatch_ptr 1
		.amdhsa_user_sgpr_queue_ptr 0
		.amdhsa_user_sgpr_kernarg_segment_ptr 1
		.amdhsa_user_sgpr_dispatch_id 0
		.amdhsa_user_sgpr_private_segment_size 0
		.amdhsa_wavefront_size32 1
		.amdhsa_uses_dynamic_stack 0
		.amdhsa_enable_private_segment 0
		.amdhsa_system_sgpr_workgroup_id_x 1
		.amdhsa_system_sgpr_workgroup_id_y 0
		.amdhsa_system_sgpr_workgroup_id_z 0
		.amdhsa_system_sgpr_workgroup_info 0
		.amdhsa_system_vgpr_workitem_id 2
		.amdhsa_next_free_vgpr 24
		.amdhsa_next_free_sgpr 16
		.amdhsa_reserve_vcc 1
		.amdhsa_float_round_mode_32 0
		.amdhsa_float_round_mode_16_64 0
		.amdhsa_float_denorm_mode_32 3
		.amdhsa_float_denorm_mode_16_64 3
		.amdhsa_dx10_clamp 1
		.amdhsa_ieee_mode 1
		.amdhsa_fp16_overflow 0
		.amdhsa_workgroup_processor_mode 1
		.amdhsa_memory_ordered 1
		.amdhsa_forward_progress 0
		.amdhsa_shared_vgpr_count 0
		.amdhsa_exception_fp_ieee_invalid_op 0
		.amdhsa_exception_fp_denorm_src 0
		.amdhsa_exception_fp_ieee_div_zero 0
		.amdhsa_exception_fp_ieee_overflow 0
		.amdhsa_exception_fp_ieee_underflow 0
		.amdhsa_exception_fp_ieee_inexact 0
		.amdhsa_exception_int_div_zero 0
	.end_amdhsa_kernel
	.section	.text._ZN4vllm3moe17topkGatingSoftmaxILi4ELi32ELi4ELi16ELi64EiEEvPKfPKbPfiPT4_Piiii,"axG",@progbits,_ZN4vllm3moe17topkGatingSoftmaxILi4ELi32ELi4ELi16ELi64EiEEvPKfPKbPfiPT4_Piiii,comdat
.Lfunc_end10:
	.size	_ZN4vllm3moe17topkGatingSoftmaxILi4ELi32ELi4ELi16ELi64EiEEvPKfPKbPfiPT4_Piiii, .Lfunc_end10-_ZN4vllm3moe17topkGatingSoftmaxILi4ELi32ELi4ELi16ELi64EiEEvPKfPKbPfiPT4_Piiii
                                        ; -- End function
	.section	.AMDGPU.csdata,"",@progbits
; Kernel info:
; codeLenInByte = 1908
; NumSgprs: 18
; NumVgprs: 24
; ScratchSize: 0
; MemoryBound: 0
; FloatMode: 240
; IeeeMode: 1
; LDSByteSize: 4096 bytes/workgroup (compile time only)
; SGPRBlocks: 2
; VGPRBlocks: 2
; NumSGPRsForWavesPerEU: 18
; NumVGPRsForWavesPerEU: 24
; Occupancy: 16
; WaveLimiterHint : 0
; COMPUTE_PGM_RSRC2:SCRATCH_EN: 0
; COMPUTE_PGM_RSRC2:USER_SGPR: 15
; COMPUTE_PGM_RSRC2:TRAP_HANDLER: 0
; COMPUTE_PGM_RSRC2:TGID_X_EN: 1
; COMPUTE_PGM_RSRC2:TGID_Y_EN: 0
; COMPUTE_PGM_RSRC2:TGID_Z_EN: 0
; COMPUTE_PGM_RSRC2:TIDIG_COMP_CNT: 2
	.section	.text._ZN4vllm3moe17topkGatingSoftmaxILi4ELi32ELi4ELi16ELi32EiEEvPKfPKbPfiPT4_Piiii,"axG",@progbits,_ZN4vllm3moe17topkGatingSoftmaxILi4ELi32ELi4ELi16ELi32EiEEvPKfPKbPfiPT4_Piiii,comdat
	.protected	_ZN4vllm3moe17topkGatingSoftmaxILi4ELi32ELi4ELi16ELi32EiEEvPKfPKbPfiPT4_Piiii ; -- Begin function _ZN4vllm3moe17topkGatingSoftmaxILi4ELi32ELi4ELi16ELi32EiEEvPKfPKbPfiPT4_Piiii
	.globl	_ZN4vllm3moe17topkGatingSoftmaxILi4ELi32ELi4ELi16ELi32EiEEvPKfPKbPfiPT4_Piiii
	.p2align	8
	.type	_ZN4vllm3moe17topkGatingSoftmaxILi4ELi32ELi4ELi16ELi32EiEEvPKfPKbPfiPT4_Piiii,@function
_ZN4vllm3moe17topkGatingSoftmaxILi4ELi32ELi4ELi16ELi32EiEEvPKfPKbPfiPT4_Piiii: ; @_ZN4vllm3moe17topkGatingSoftmaxILi4ELi32ELi4ELi16ELi32EiEEvPKfPKbPfiPT4_Piiii
; %bb.0:
	s_load_b32 s14, s[2:3], 0x18
	v_bfe_u32 v7, v0, 10, 10
	v_and_b32_e32 v6, 0x3ff, v0
	s_lshl_b32 s4, s15, 4
	s_delay_alu instid0(VALU_DEP_2) | instskip(NEXT) | instid1(VALU_DEP_2)
	v_lshlrev_b32_e32 v1, 2, v7
	v_lshrrev_b32_e32 v2, 3, v6
	s_delay_alu instid0(VALU_DEP_1) | instskip(SKIP_2) | instid1(VALU_DEP_1)
	v_add3_u32 v1, s4, v1, v2
	s_mov_b32 s4, exec_lo
	s_waitcnt lgkmcnt(0)
	v_cmpx_gt_i32_e64 s14, v1
	s_cbranch_execz .LBB11_22
; %bb.1:
	s_clause 0x1
	s_load_b128 s[4:7], s[2:3], 0x0
	s_load_b64 s[12:13], s[2:3], 0x10
	s_mov_b32 s15, -1
	s_waitcnt lgkmcnt(0)
	s_cmp_eq_u64 s[6:7], 0
	s_cbranch_scc1 .LBB11_3
; %bb.2:
	v_ashrrev_i32_e32 v3, 31, v1
	v_add_co_u32 v2, vcc_lo, s6, v1
	s_delay_alu instid0(VALU_DEP_2) | instskip(SKIP_3) | instid1(VALU_DEP_1)
	v_add_co_ci_u32_e32 v3, vcc_lo, s7, v3, vcc_lo
	global_load_u8 v2, v[2:3], off
	s_waitcnt vmcnt(0)
	v_and_b32_e32 v2, 1, v2
	v_cmp_eq_u32_e32 vcc_lo, 1, v2
	s_xor_b32 s6, vcc_lo, -1
	s_delay_alu instid0(SALU_CYCLE_1)
	s_or_not1_b32 s15, s6, exec_lo
.LBB11_3:
	v_lshlrev_b32_e32 v3, 5, v1
	v_and_b32_e32 v2, 7, v6
	s_load_b64 s[0:1], s[0:1], 0x4
	v_bfe_u32 v0, v0, 20, 10
	s_delay_alu instid0(VALU_DEP_3) | instskip(NEXT) | instid1(VALU_DEP_3)
	v_ashrrev_i32_e32 v4, 31, v3
	v_lshlrev_b32_e32 v5, 4, v2
	s_delay_alu instid0(VALU_DEP_2) | instskip(NEXT) | instid1(VALU_DEP_1)
	v_lshlrev_b64 v[3:4], 2, v[3:4]
	v_add_co_u32 v3, vcc_lo, s4, v3
	s_delay_alu instid0(VALU_DEP_2) | instskip(SKIP_1) | instid1(VALU_DEP_2)
	v_add_co_ci_u32_e32 v4, vcc_lo, s5, v4, vcc_lo
	s_load_b128 s[4:7], s[2:3], 0x30
	v_add_co_u32 v3, vcc_lo, v3, v5
	s_delay_alu instid0(VALU_DEP_2)
	v_add_co_ci_u32_e32 v4, vcc_lo, 0, v4, vcc_lo
	v_mbcnt_lo_u32_b32 v5, -1, 0
	s_waitcnt lgkmcnt(0)
	v_mul_u32_u24_e32 v7, s1, v7
	s_lshr_b32 s0, s0, 16
	global_load_b128 v[8:11], v[3:4], off
	s_mul_i32 s0, s0, s1
	v_xor_b32_e32 v14, 2, v5
	v_and_b32_e32 v3, 24, v5
	v_xor_b32_e32 v4, 4, v5
	v_mad_u32_u24 v6, s0, v6, v7
	s_mov_b32 s7, 0
	s_delay_alu instid0(VALU_DEP_3) | instskip(NEXT) | instid1(VALU_DEP_2)
	v_add_nc_u32_e32 v12, 8, v3
	v_add_lshl_u32 v0, v6, v0, 4
	s_cmp_lt_i32 s4, 1
	s_waitcnt vmcnt(0)
	v_max_f32_e32 v13, v8, v8
	v_cmp_lt_i32_e32 vcc_lo, v4, v12
	v_max_f32_e32 v3, v9, v9
	v_cndmask_b32_e32 v4, v5, v4, vcc_lo
	v_cmp_lt_i32_e32 vcc_lo, v14, v12
	v_cndmask_b32_e32 v14, v5, v14, vcc_lo
	s_delay_alu instid0(VALU_DEP_4) | instskip(NEXT) | instid1(VALU_DEP_4)
	v_max_f32_e32 v13, v13, v3
	v_lshlrev_b32_e32 v3, 2, v4
	s_delay_alu instid0(VALU_DEP_2) | instskip(SKIP_3) | instid1(VALU_DEP_1)
	v_max3_f32 v13, v13, v10, v11
	ds_bpermute_b32 v4, v3, v13
	s_waitcnt lgkmcnt(0)
	v_dual_max_f32 v15, v4, v4 :: v_dual_lshlrev_b32 v4, 2, v14
	v_max_f32_e32 v13, v13, v15
	v_xor_b32_e32 v15, 1, v5
	ds_bpermute_b32 v14, v4, v13
	v_cmp_lt_i32_e32 vcc_lo, v15, v12
	s_waitcnt lgkmcnt(0)
	v_max_f32_e32 v12, v14, v14
	s_delay_alu instid0(VALU_DEP_1) | instskip(SKIP_1) | instid1(VALU_DEP_1)
	v_max_f32_e32 v12, v13, v12
	v_cndmask_b32_e32 v5, v5, v15, vcc_lo
	v_lshlrev_b32_e32 v5, 2, v5
	ds_bpermute_b32 v13, v5, v12
	s_waitcnt lgkmcnt(0)
	v_max_f32_e32 v13, v13, v13
	s_delay_alu instid0(VALU_DEP_1) | instskip(NEXT) | instid1(VALU_DEP_1)
	v_max_f32_e32 v12, v12, v13
	v_sub_f32_e32 v8, v8, v12
	v_sub_f32_e32 v9, v9, v12
	;; [unrolled: 1-line block ×4, first 2 shown]
	s_delay_alu instid0(VALU_DEP_4) | instskip(SKIP_1) | instid1(VALU_DEP_4)
	v_mul_f32_e32 v12, 0x3fb8aa3b, v8
	v_cmp_ngt_f32_e32 vcc_lo, 0xc2ce8ed0, v8
	v_mul_f32_e32 v14, 0x3fb8aa3b, v10
	s_delay_alu instid0(VALU_DEP_3) | instskip(SKIP_1) | instid1(VALU_DEP_3)
	v_fma_f32 v16, 0x3fb8aa3b, v8, -v12
	v_rndne_f32_e32 v17, v12
	v_rndne_f32_e32 v21, v14
	v_fma_f32 v20, 0x3fb8aa3b, v10, -v14
	s_delay_alu instid0(VALU_DEP_4) | instskip(NEXT) | instid1(VALU_DEP_4)
	v_fmac_f32_e32 v16, 0x32a5705f, v8
	v_sub_f32_e32 v12, v12, v17
	v_mul_f32_e32 v13, 0x3fb8aa3b, v9
	v_sub_f32_e32 v14, v14, v21
	s_delay_alu instid0(VALU_DEP_3) | instskip(NEXT) | instid1(VALU_DEP_3)
	v_add_f32_e32 v12, v12, v16
	v_fma_f32 v18, 0x3fb8aa3b, v9, -v13
	v_rndne_f32_e32 v19, v13
	v_cvt_i32_f32_e32 v16, v17
	s_delay_alu instid0(VALU_DEP_4) | instskip(NEXT) | instid1(VALU_DEP_3)
	v_exp_f32_e32 v12, v12
	v_fmac_f32_e32 v18, 0x32a5705f, v9
	v_mul_f32_e32 v15, 0x3fb8aa3b, v11
	v_sub_f32_e32 v13, v13, v19
	v_cvt_i32_f32_e32 v17, v19
	s_delay_alu instid0(VALU_DEP_3) | instskip(SKIP_3) | instid1(TRANS32_DEP_1)
	v_fma_f32 v22, 0x3fb8aa3b, v11, -v15
	v_rndne_f32_e32 v23, v15
	v_fmac_f32_e32 v20, 0x32a5705f, v10
	v_add_f32_e32 v13, v13, v18
	v_ldexp_f32 v12, v12, v16
	v_fmac_f32_e32 v22, 0x32a5705f, v11
	s_delay_alu instid0(VALU_DEP_4) | instskip(NEXT) | instid1(VALU_DEP_4)
	v_dual_sub_f32 v15, v15, v23 :: v_dual_add_f32 v14, v14, v20
	v_exp_f32_e32 v13, v13
	v_cvt_i32_f32_e32 v18, v21
	v_cvt_i32_f32_e32 v19, v23
	s_delay_alu instid0(VALU_DEP_3) | instskip(SKIP_1) | instid1(VALU_DEP_1)
	v_add_f32_e32 v15, v15, v22
	v_exp_f32_e32 v14, v14
	v_exp_f32_e32 v15, v15
	s_delay_alu instid0(TRANS32_DEP_3)
	v_ldexp_f32 v13, v13, v17
	v_cndmask_b32_e32 v12, 0, v12, vcc_lo
	v_cmp_ngt_f32_e32 vcc_lo, 0xc2ce8ed0, v9
	s_waitcnt_depctr 0xfff
	v_ldexp_f32 v14, v14, v18
	v_cndmask_b32_e32 v13, 0, v13, vcc_lo
	v_cmp_ngt_f32_e32 vcc_lo, 0xc2ce8ed0, v10
	v_ldexp_f32 v15, v15, v19
	s_delay_alu instid0(VALU_DEP_4)
	v_cndmask_b32_e32 v14, 0, v14, vcc_lo
	v_cmp_nlt_f32_e32 vcc_lo, 0x42b17218, v8
	v_cndmask_b32_e32 v8, 0x7f800000, v12, vcc_lo
	v_cmp_nlt_f32_e32 vcc_lo, 0x42b17218, v9
	v_cndmask_b32_e32 v9, 0x7f800000, v13, vcc_lo
	v_cmp_ngt_f32_e32 vcc_lo, 0xc2ce8ed0, v11
	s_delay_alu instid0(VALU_DEP_2) | instskip(SKIP_3) | instid1(VALU_DEP_2)
	v_dual_add_f32 v13, v8, v9 :: v_dual_cndmask_b32 v12, 0, v15
	v_cmp_nlt_f32_e32 vcc_lo, 0x42b17218, v10
	v_cndmask_b32_e32 v10, 0x7f800000, v14, vcc_lo
	v_cmp_nlt_f32_e32 vcc_lo, 0x42b17218, v11
	v_dual_cndmask_b32 v11, 0x7f800000, v12 :: v_dual_add_f32 v12, v13, v10
	s_delay_alu instid0(VALU_DEP_1)
	v_add_f32_e32 v12, v12, v11
	ds_bpermute_b32 v13, v3, v12
	s_waitcnt lgkmcnt(0)
	v_add_f32_e32 v12, v12, v13
	ds_bpermute_b32 v13, v4, v12
	s_waitcnt lgkmcnt(0)
	;; [unrolled: 3-line block ×3, first 2 shown]
	v_add_f32_e32 v12, v12, v13
	s_delay_alu instid0(VALU_DEP_1) | instskip(SKIP_1) | instid1(VALU_DEP_2)
	v_div_scale_f32 v13, null, v12, v12, 1.0
	v_div_scale_f32 v16, vcc_lo, 1.0, v12, 1.0
	v_rcp_f32_e32 v14, v13
	s_waitcnt_depctr 0xfff
	v_fma_f32 v15, -v13, v14, 1.0
	s_delay_alu instid0(VALU_DEP_1) | instskip(NEXT) | instid1(VALU_DEP_1)
	v_fmac_f32_e32 v14, v15, v14
	v_mul_f32_e32 v15, v16, v14
	s_delay_alu instid0(VALU_DEP_1) | instskip(NEXT) | instid1(VALU_DEP_1)
	v_fma_f32 v17, -v13, v15, v16
	v_fmac_f32_e32 v15, v17, v14
	s_delay_alu instid0(VALU_DEP_1) | instskip(NEXT) | instid1(VALU_DEP_1)
	v_fma_f32 v13, -v13, v15, v16
	v_div_fmas_f32 v13, v13, v14, v15
	s_delay_alu instid0(VALU_DEP_1) | instskip(NEXT) | instid1(VALU_DEP_1)
	v_div_fixup_f32 v12, v13, v12, 1.0
	v_mul_f32_e32 v6, v12, v8
	v_mul_f32_e32 v7, v12, v9
	;; [unrolled: 1-line block ×4, first 2 shown]
	ds_store_b128 v0, v[6:9]
	s_cbranch_scc1 .LBB11_22
; %bb.4:
	s_load_b128 s[8:11], s[2:3], 0x20
	v_mul_lo_u32 v6, v1, s4
	v_dual_mov_b32 v8, 0xc61c4000 :: v_dual_lshlrev_b32 v7, 2, v2
	v_cmp_eq_u32_e32 vcc_lo, 0, v2
	s_branch .LBB11_6
.LBB11_5:                               ;   in Loop: Header=BB11_6 Depth=1
	s_or_b32 exec_lo, exec_lo, s0
	v_add_nc_u32_e32 v1, s14, v1
	s_cmp_lg_u32 s4, s7
	s_cbranch_scc0 .LBB11_22
.LBB11_6:                               ; =>This Inner Loop Header: Depth=1
	ds_load_b128 v[9:12], v0
	s_mov_b32 s3, exec_lo
	s_waitcnt lgkmcnt(0)
	v_cmp_gt_f32_e64 s0, v10, v9
	s_delay_alu instid0(VALU_DEP_1) | instskip(SKIP_1) | instid1(VALU_DEP_2)
	v_cndmask_b32_e64 v9, v9, v10, s0
	v_cndmask_b32_e64 v10, 0, 1, s0
	v_cmp_gt_f32_e64 s0, v11, v9
	s_delay_alu instid0(VALU_DEP_1) | instskip(NEXT) | instid1(VALU_DEP_3)
	v_cndmask_b32_e64 v9, v9, v11, s0
	v_cndmask_b32_e64 v11, v10, 2, s0
	s_delay_alu instid0(VALU_DEP_2) | instskip(NEXT) | instid1(VALU_DEP_1)
	v_cmp_gt_f32_e64 s0, v12, v9
	v_cndmask_b32_e64 v10, v9, v12, s0
	s_delay_alu instid0(VALU_DEP_3)
	v_cndmask_b32_e64 v9, v11, 3, s0
	ds_bpermute_b32 v11, v3, v10
	v_or_b32_e32 v9, v7, v9
	ds_bpermute_b32 v12, v3, v9
	s_waitcnt lgkmcnt(1)
	v_cmp_lt_f32_e64 s2, v10, v11
	v_cmpx_nlt_f32_e32 v10, v11
	s_cbranch_execz .LBB11_8
; %bb.7:                                ;   in Loop: Header=BB11_6 Depth=1
	v_cmp_eq_f32_e64 s0, v10, v11
	s_waitcnt lgkmcnt(0)
	v_cmp_lt_i32_e64 s1, v12, v9
	s_delay_alu instid0(VALU_DEP_1) | instskip(SKIP_2) | instid1(SALU_CYCLE_1)
	s_and_b32 s0, s0, s1
	s_and_not1_b32 s1, s2, exec_lo
	s_and_b32 s0, s0, exec_lo
	s_or_b32 s2, s1, s0
.LBB11_8:                               ;   in Loop: Header=BB11_6 Depth=1
	s_or_b32 exec_lo, exec_lo, s3
	s_delay_alu instid0(VALU_DEP_2)
	s_and_saveexec_b32 s0, s2
	s_cbranch_execz .LBB11_10
; %bb.9:                                ;   in Loop: Header=BB11_6 Depth=1
	s_waitcnt lgkmcnt(0)
	v_dual_mov_b32 v10, v11 :: v_dual_mov_b32 v9, v12
.LBB11_10:                              ;   in Loop: Header=BB11_6 Depth=1
	s_or_b32 exec_lo, exec_lo, s0
	s_waitcnt lgkmcnt(0)
	ds_bpermute_b32 v12, v4, v10
	ds_bpermute_b32 v11, v4, v9
	s_mov_b32 s3, exec_lo
	s_waitcnt lgkmcnt(1)
	v_cmp_lt_f32_e64 s2, v10, v12
	v_cmpx_nlt_f32_e32 v10, v12
	s_cbranch_execz .LBB11_12
; %bb.11:                               ;   in Loop: Header=BB11_6 Depth=1
	v_cmp_eq_f32_e64 s0, v10, v12
	s_waitcnt lgkmcnt(0)
	v_cmp_lt_i32_e64 s1, v11, v9
	s_delay_alu instid0(VALU_DEP_1) | instskip(SKIP_2) | instid1(SALU_CYCLE_1)
	s_and_b32 s0, s0, s1
	s_and_not1_b32 s1, s2, exec_lo
	s_and_b32 s0, s0, exec_lo
	s_or_b32 s2, s1, s0
.LBB11_12:                              ;   in Loop: Header=BB11_6 Depth=1
	s_or_b32 exec_lo, exec_lo, s3
	s_delay_alu instid0(VALU_DEP_2)
	s_and_saveexec_b32 s0, s2
	s_cbranch_execz .LBB11_14
; %bb.13:                               ;   in Loop: Header=BB11_6 Depth=1
	s_waitcnt lgkmcnt(0)
	v_dual_mov_b32 v10, v12 :: v_dual_mov_b32 v9, v11
.LBB11_14:                              ;   in Loop: Header=BB11_6 Depth=1
	s_or_b32 exec_lo, exec_lo, s0
	s_waitcnt lgkmcnt(0)
	ds_bpermute_b32 v11, v5, v10
	ds_bpermute_b32 v12, v5, v9
	s_mov_b32 s3, exec_lo
	s_waitcnt lgkmcnt(1)
	v_cmp_lt_f32_e64 s2, v10, v11
	v_cmpx_nlt_f32_e32 v10, v11
	s_cbranch_execnz .LBB11_20
; %bb.15:                               ;   in Loop: Header=BB11_6 Depth=1
	s_or_b32 exec_lo, exec_lo, s3
	s_delay_alu instid0(VALU_DEP_2)
	s_and_saveexec_b32 s0, s2
	s_cbranch_execnz .LBB11_21
.LBB11_16:                              ;   in Loop: Header=BB11_6 Depth=1
	s_or_b32 exec_lo, exec_lo, s0
	s_and_saveexec_b32 s2, vcc_lo
	s_cbranch_execz .LBB11_18
.LBB11_17:                              ;   in Loop: Header=BB11_6 Depth=1
	v_add_nc_u32_e32 v11, s7, v6
	v_cmp_le_i32_e64 s0, s5, v9
	v_cmp_gt_i32_e64 s1, s6, v9
	v_subrev_nc_u32_e32 v13, s5, v9
	s_waitcnt lgkmcnt(0)
	v_ashrrev_i32_e32 v12, 31, v11
	s_delay_alu instid0(VALU_DEP_3) | instskip(NEXT) | instid1(SALU_CYCLE_1)
	s_and_b32 s0, s0, s1
	s_and_b32 s0, s15, s0
	s_delay_alu instid0(VALU_DEP_1) | instskip(SKIP_1) | instid1(VALU_DEP_2)
	v_lshlrev_b64 v[11:12], 2, v[11:12]
	v_cndmask_b32_e64 v17, 32, v13, s0
	v_add_co_u32 v13, s0, s12, v11
	s_delay_alu instid0(VALU_DEP_1) | instskip(SKIP_1) | instid1(VALU_DEP_1)
	v_add_co_ci_u32_e64 v14, s0, s13, v12, s0
	v_add_co_u32 v15, s0, s8, v11
	v_add_co_ci_u32_e64 v16, s0, s9, v12, s0
	v_add_co_u32 v11, s0, s10, v11
	s_delay_alu instid0(VALU_DEP_1)
	v_add_co_ci_u32_e64 v12, s0, s11, v12, s0
	global_store_b32 v[13:14], v10, off
	global_store_b32 v[15:16], v17, off
	;; [unrolled: 1-line block ×3, first 2 shown]
.LBB11_18:                              ;   in Loop: Header=BB11_6 Depth=1
	s_or_b32 exec_lo, exec_lo, s2
	v_ashrrev_i32_e32 v11, 31, v9
	s_add_i32 s7, s7, 1
	s_delay_alu instid0(SALU_CYCLE_1) | instskip(SKIP_1) | instid1(VALU_DEP_1)
	s_cmp_lt_i32 s7, s4
	s_cselect_b32 s1, -1, 0
	v_lshrrev_b32_e32 v10, 30, v11
	s_delay_alu instid0(VALU_DEP_1) | instskip(NEXT) | instid1(VALU_DEP_1)
	v_add_nc_u32_e32 v10, v9, v10
	v_ashrrev_i32_e32 v10, 2, v10
	s_waitcnt lgkmcnt(0)
	s_delay_alu instid0(VALU_DEP_1) | instskip(NEXT) | instid1(VALU_DEP_1)
	v_lshrrev_b32_e32 v12, 29, v10
	v_add_nc_u32_e32 v12, v10, v12
	s_delay_alu instid0(VALU_DEP_1) | instskip(NEXT) | instid1(VALU_DEP_1)
	v_and_b32_e32 v12, -8, v12
	v_sub_nc_u32_e32 v12, v10, v12
	s_delay_alu instid0(VALU_DEP_1) | instskip(NEXT) | instid1(VALU_DEP_1)
	v_cmp_eq_u32_e64 s0, v2, v12
	s_and_b32 s1, s1, s0
	s_delay_alu instid0(SALU_CYCLE_1)
	s_and_saveexec_b32 s0, s1
	s_cbranch_execz .LBB11_5
; %bb.19:                               ;   in Loop: Header=BB11_6 Depth=1
	v_lshrrev_b32_e32 v11, 27, v11
	v_lshlrev_b32_e32 v10, 2, v10
	s_delay_alu instid0(VALU_DEP_2) | instskip(NEXT) | instid1(VALU_DEP_2)
	v_add_nc_u32_e32 v11, v9, v11
	v_sub_nc_u32_e32 v9, v9, v10
	s_delay_alu instid0(VALU_DEP_2) | instskip(NEXT) | instid1(VALU_DEP_1)
	v_ashrrev_i32_e32 v11, 5, v11
	v_lshl_add_u32 v9, v11, 2, v9
	s_delay_alu instid0(VALU_DEP_1)
	v_lshl_add_u32 v9, v9, 2, v0
	ds_store_b32 v9, v8
	s_branch .LBB11_5
.LBB11_20:                              ;   in Loop: Header=BB11_6 Depth=1
	v_cmp_eq_f32_e64 s0, v10, v11
	s_waitcnt lgkmcnt(0)
	v_cmp_lt_i32_e64 s1, v12, v9
	s_delay_alu instid0(VALU_DEP_1) | instskip(SKIP_2) | instid1(SALU_CYCLE_1)
	s_and_b32 s0, s0, s1
	s_and_not1_b32 s1, s2, exec_lo
	s_and_b32 s0, s0, exec_lo
	s_or_b32 s2, s1, s0
	s_or_b32 exec_lo, exec_lo, s3
	s_and_saveexec_b32 s0, s2
	s_cbranch_execz .LBB11_16
.LBB11_21:                              ;   in Loop: Header=BB11_6 Depth=1
	s_waitcnt lgkmcnt(0)
	v_dual_mov_b32 v10, v11 :: v_dual_mov_b32 v9, v12
	s_or_b32 exec_lo, exec_lo, s0
	s_and_saveexec_b32 s2, vcc_lo
	s_cbranch_execnz .LBB11_17
	s_branch .LBB11_18
.LBB11_22:
	s_nop 0
	s_sendmsg sendmsg(MSG_DEALLOC_VGPRS)
	s_endpgm
	.section	.rodata,"a",@progbits
	.p2align	6, 0x0
	.amdhsa_kernel _ZN4vllm3moe17topkGatingSoftmaxILi4ELi32ELi4ELi16ELi32EiEEvPKfPKbPfiPT4_Piiii
		.amdhsa_group_segment_fixed_size 2048
		.amdhsa_private_segment_fixed_size 0
		.amdhsa_kernarg_size 60
		.amdhsa_user_sgpr_count 15
		.amdhsa_user_sgpr_dispatch_ptr 1
		.amdhsa_user_sgpr_queue_ptr 0
		.amdhsa_user_sgpr_kernarg_segment_ptr 1
		.amdhsa_user_sgpr_dispatch_id 0
		.amdhsa_user_sgpr_private_segment_size 0
		.amdhsa_wavefront_size32 1
		.amdhsa_uses_dynamic_stack 0
		.amdhsa_enable_private_segment 0
		.amdhsa_system_sgpr_workgroup_id_x 1
		.amdhsa_system_sgpr_workgroup_id_y 0
		.amdhsa_system_sgpr_workgroup_id_z 0
		.amdhsa_system_sgpr_workgroup_info 0
		.amdhsa_system_vgpr_workitem_id 2
		.amdhsa_next_free_vgpr 24
		.amdhsa_next_free_sgpr 16
		.amdhsa_reserve_vcc 1
		.amdhsa_float_round_mode_32 0
		.amdhsa_float_round_mode_16_64 0
		.amdhsa_float_denorm_mode_32 3
		.amdhsa_float_denorm_mode_16_64 3
		.amdhsa_dx10_clamp 1
		.amdhsa_ieee_mode 1
		.amdhsa_fp16_overflow 0
		.amdhsa_workgroup_processor_mode 1
		.amdhsa_memory_ordered 1
		.amdhsa_forward_progress 0
		.amdhsa_shared_vgpr_count 0
		.amdhsa_exception_fp_ieee_invalid_op 0
		.amdhsa_exception_fp_denorm_src 0
		.amdhsa_exception_fp_ieee_div_zero 0
		.amdhsa_exception_fp_ieee_overflow 0
		.amdhsa_exception_fp_ieee_underflow 0
		.amdhsa_exception_fp_ieee_inexact 0
		.amdhsa_exception_int_div_zero 0
	.end_amdhsa_kernel
	.section	.text._ZN4vllm3moe17topkGatingSoftmaxILi4ELi32ELi4ELi16ELi32EiEEvPKfPKbPfiPT4_Piiii,"axG",@progbits,_ZN4vllm3moe17topkGatingSoftmaxILi4ELi32ELi4ELi16ELi32EiEEvPKfPKbPfiPT4_Piiii,comdat
.Lfunc_end11:
	.size	_ZN4vllm3moe17topkGatingSoftmaxILi4ELi32ELi4ELi16ELi32EiEEvPKfPKbPfiPT4_Piiii, .Lfunc_end11-_ZN4vllm3moe17topkGatingSoftmaxILi4ELi32ELi4ELi16ELi32EiEEvPKfPKbPfiPT4_Piiii
                                        ; -- End function
	.section	.AMDGPU.csdata,"",@progbits
; Kernel info:
; codeLenInByte = 1900
; NumSgprs: 18
; NumVgprs: 24
; ScratchSize: 0
; MemoryBound: 0
; FloatMode: 240
; IeeeMode: 1
; LDSByteSize: 2048 bytes/workgroup (compile time only)
; SGPRBlocks: 2
; VGPRBlocks: 2
; NumSGPRsForWavesPerEU: 18
; NumVGPRsForWavesPerEU: 24
; Occupancy: 16
; WaveLimiterHint : 0
; COMPUTE_PGM_RSRC2:SCRATCH_EN: 0
; COMPUTE_PGM_RSRC2:USER_SGPR: 15
; COMPUTE_PGM_RSRC2:TRAP_HANDLER: 0
; COMPUTE_PGM_RSRC2:TGID_X_EN: 1
; COMPUTE_PGM_RSRC2:TGID_Y_EN: 0
; COMPUTE_PGM_RSRC2:TGID_Z_EN: 0
; COMPUTE_PGM_RSRC2:TIDIG_COMP_CNT: 2
	.section	.text._ZN4vllm3moe17topkGatingSoftmaxILi4ELi64ELi4ELi16ELi64EiEEvPKfPKbPfiPT4_Piiii,"axG",@progbits,_ZN4vllm3moe17topkGatingSoftmaxILi4ELi64ELi4ELi16ELi64EiEEvPKfPKbPfiPT4_Piiii,comdat
	.protected	_ZN4vllm3moe17topkGatingSoftmaxILi4ELi64ELi4ELi16ELi64EiEEvPKfPKbPfiPT4_Piiii ; -- Begin function _ZN4vllm3moe17topkGatingSoftmaxILi4ELi64ELi4ELi16ELi64EiEEvPKfPKbPfiPT4_Piiii
	.globl	_ZN4vllm3moe17topkGatingSoftmaxILi4ELi64ELi4ELi16ELi64EiEEvPKfPKbPfiPT4_Piiii
	.p2align	8
	.type	_ZN4vllm3moe17topkGatingSoftmaxILi4ELi64ELi4ELi16ELi64EiEEvPKfPKbPfiPT4_Piiii,@function
_ZN4vllm3moe17topkGatingSoftmaxILi4ELi64ELi4ELi16ELi64EiEEvPKfPKbPfiPT4_Piiii: ; @_ZN4vllm3moe17topkGatingSoftmaxILi4ELi64ELi4ELi16ELi64EiEEvPKfPKbPfiPT4_Piiii
; %bb.0:
	s_load_b32 s14, s[2:3], 0x18
	v_bfe_u32 v7, v0, 10, 10
	v_and_b32_e32 v8, 0x3ff, v0
	s_lshl_b32 s4, s15, 4
	s_delay_alu instid0(VALU_DEP_2) | instskip(NEXT) | instid1(VALU_DEP_2)
	v_lshlrev_b32_e32 v1, 2, v7
	v_lshrrev_b32_e32 v2, 4, v8
	s_delay_alu instid0(VALU_DEP_1) | instskip(SKIP_2) | instid1(VALU_DEP_1)
	v_add3_u32 v1, s4, v1, v2
	s_mov_b32 s4, exec_lo
	s_waitcnt lgkmcnt(0)
	v_cmpx_gt_i32_e64 s14, v1
	s_cbranch_execz .LBB12_26
; %bb.1:
	s_clause 0x1
	s_load_b128 s[4:7], s[2:3], 0x0
	s_load_b64 s[12:13], s[2:3], 0x10
	s_mov_b32 s15, -1
	s_waitcnt lgkmcnt(0)
	s_cmp_eq_u64 s[6:7], 0
	s_cbranch_scc1 .LBB12_3
; %bb.2:
	v_ashrrev_i32_e32 v3, 31, v1
	v_add_co_u32 v2, vcc_lo, s6, v1
	s_delay_alu instid0(VALU_DEP_2) | instskip(SKIP_3) | instid1(VALU_DEP_1)
	v_add_co_ci_u32_e32 v3, vcc_lo, s7, v3, vcc_lo
	global_load_u8 v2, v[2:3], off
	s_waitcnt vmcnt(0)
	v_and_b32_e32 v2, 1, v2
	v_cmp_eq_u32_e32 vcc_lo, 1, v2
	s_xor_b32 s6, vcc_lo, -1
	s_delay_alu instid0(SALU_CYCLE_1)
	s_or_not1_b32 s15, s6, exec_lo
.LBB12_3:
	v_mbcnt_lo_u32_b32 v6, -1, 0
	v_lshlrev_b32_e32 v3, 6, v1
	v_and_b32_e32 v2, 15, v8
	s_load_b64 s[0:1], s[0:1], 0x4
	v_bfe_u32 v0, v0, 20, 10
	v_xor_b32_e32 v14, 4, v6
	v_ashrrev_i32_e32 v4, 31, v3
	v_lshlrev_b32_e32 v5, 4, v2
	s_delay_alu instid0(VALU_DEP_2) | instskip(NEXT) | instid1(VALU_DEP_1)
	v_lshlrev_b64 v[3:4], 2, v[3:4]
	v_add_co_u32 v3, vcc_lo, s4, v3
	s_delay_alu instid0(VALU_DEP_2) | instskip(SKIP_1) | instid1(VALU_DEP_2)
	v_add_co_ci_u32_e32 v4, vcc_lo, s5, v4, vcc_lo
	s_load_b128 s[4:7], s[2:3], 0x30
	v_add_co_u32 v3, vcc_lo, v3, v5
	s_delay_alu instid0(VALU_DEP_2)
	v_add_co_ci_u32_e32 v4, vcc_lo, 0, v4, vcc_lo
	s_waitcnt lgkmcnt(0)
	s_lshr_b32 s0, s0, 16
	s_mov_b32 s7, 0
	s_mul_i32 s0, s0, s1
	global_load_b128 v[9:12], v[3:4], off
	v_and_b32_e32 v3, 16, v6
	v_xor_b32_e32 v4, 8, v6
	v_mul_lo_u32 v8, s0, v8
	s_delay_alu instid0(VALU_DEP_3) | instskip(NEXT) | instid1(VALU_DEP_2)
	v_add_nc_u32_e32 v13, 16, v3
	v_mad_u32_u24 v7, v7, s1, v8
	s_delay_alu instid0(VALU_DEP_2) | instskip(SKIP_1) | instid1(VALU_DEP_2)
	v_cmp_lt_i32_e32 vcc_lo, v4, v13
	s_cmp_lt_i32 s4, 1
	v_add_lshl_u32 v0, v7, v0, 4
	v_cndmask_b32_e32 v4, v6, v4, vcc_lo
	v_cmp_lt_i32_e32 vcc_lo, v14, v13
	v_cndmask_b32_e32 v14, v6, v14, vcc_lo
	s_waitcnt vmcnt(0)
	v_max_f32_e32 v3, v10, v10
	v_max_f32_e32 v5, v9, v9
	s_delay_alu instid0(VALU_DEP_1) | instskip(SKIP_1) | instid1(VALU_DEP_2)
	v_max_f32_e32 v5, v5, v3
	v_lshlrev_b32_e32 v3, 2, v4
	v_max3_f32 v5, v5, v11, v12
	ds_bpermute_b32 v4, v3, v5
	s_waitcnt lgkmcnt(0)
	v_dual_max_f32 v15, v4, v4 :: v_dual_lshlrev_b32 v4, 2, v14
	s_delay_alu instid0(VALU_DEP_1)
	v_max_f32_e32 v14, v5, v15
	v_xor_b32_e32 v15, 2, v6
	ds_bpermute_b32 v5, v4, v14
	v_cmp_lt_i32_e32 vcc_lo, v15, v13
	s_waitcnt lgkmcnt(0)
	v_dual_cndmask_b32 v15, v6, v15 :: v_dual_max_f32 v16, v5, v5
	s_delay_alu instid0(VALU_DEP_1)
	v_dual_max_f32 v14, v14, v16 :: v_dual_lshlrev_b32 v5, 2, v15
	v_xor_b32_e32 v16, 1, v6
	ds_bpermute_b32 v15, v5, v14
	v_cmp_lt_i32_e32 vcc_lo, v16, v13
	v_cndmask_b32_e32 v6, v6, v16, vcc_lo
	s_waitcnt lgkmcnt(0)
	s_delay_alu instid0(VALU_DEP_1) | instskip(NEXT) | instid1(VALU_DEP_1)
	v_dual_max_f32 v13, v15, v15 :: v_dual_lshlrev_b32 v6, 2, v6
	v_max_f32_e32 v13, v14, v13
	ds_bpermute_b32 v14, v6, v13
	s_waitcnt lgkmcnt(0)
	v_max_f32_e32 v14, v14, v14
	s_delay_alu instid0(VALU_DEP_1) | instskip(NEXT) | instid1(VALU_DEP_1)
	v_max_f32_e32 v13, v13, v14
	v_sub_f32_e32 v10, v10, v13
	s_delay_alu instid0(VALU_DEP_1) | instskip(NEXT) | instid1(VALU_DEP_1)
	v_mul_f32_e32 v14, 0x3fb8aa3b, v10
	v_rndne_f32_e32 v20, v14
	v_fma_f32 v19, 0x3fb8aa3b, v10, -v14
	s_delay_alu instid0(VALU_DEP_2) | instskip(SKIP_1) | instid1(VALU_DEP_1)
	v_sub_f32_e32 v14, v14, v20
	v_sub_f32_e32 v12, v12, v13
	v_dual_sub_f32 v11, v11, v13 :: v_dual_mul_f32 v16, 0x3fb8aa3b, v12
	s_delay_alu instid0(VALU_DEP_1) | instskip(SKIP_1) | instid1(VALU_DEP_3)
	v_mul_f32_e32 v15, 0x3fb8aa3b, v11
	v_fmac_f32_e32 v19, 0x32a5705f, v10
	v_fma_f32 v23, 0x3fb8aa3b, v12, -v16
	v_rndne_f32_e32 v24, v16
	v_sub_f32_e32 v9, v9, v13
	v_rndne_f32_e32 v22, v15
	s_delay_alu instid0(VALU_DEP_4) | instskip(NEXT) | instid1(VALU_DEP_3)
	v_dual_add_f32 v14, v14, v19 :: v_dual_fmac_f32 v23, 0x32a5705f, v12
	v_dual_sub_f32 v16, v16, v24 :: v_dual_mul_f32 v13, 0x3fb8aa3b, v9
	v_fma_f32 v21, 0x3fb8aa3b, v11, -v15
	s_delay_alu instid0(VALU_DEP_4) | instskip(NEXT) | instid1(VALU_DEP_4)
	v_sub_f32_e32 v15, v15, v22
	v_exp_f32_e32 v14, v14
	s_delay_alu instid0(VALU_DEP_3)
	v_add_f32_e32 v16, v16, v23
	v_fma_f32 v17, 0x3fb8aa3b, v9, -v13
	v_rndne_f32_e32 v18, v13
	v_fmac_f32_e32 v21, 0x32a5705f, v11
	v_cmp_ngt_f32_e32 vcc_lo, 0xc2ce8ed0, v9
	v_cvt_i32_f32_e32 v19, v22
	v_fmac_f32_e32 v17, 0x32a5705f, v9
	v_sub_f32_e32 v13, v13, v18
	v_add_f32_e32 v15, v15, v21
	v_exp_f32_e32 v16, v16
	s_delay_alu instid0(VALU_DEP_2) | instskip(SKIP_1) | instid1(VALU_DEP_3)
	v_add_f32_e32 v13, v13, v17
	v_cvt_i32_f32_e32 v17, v18
	v_exp_f32_e32 v15, v15
	v_cvt_i32_f32_e32 v18, v20
	v_cvt_i32_f32_e32 v20, v24
	v_exp_f32_e32 v13, v13
	s_delay_alu instid0(VALU_DEP_2)
	v_ldexp_f32 v14, v14, v18
	s_delay_alu instid0(TRANS32_DEP_3) | instid1(VALU_DEP_2)
	v_ldexp_f32 v16, v16, v20
	s_waitcnt_depctr 0xfff
	v_ldexp_f32 v15, v15, v19
	v_ldexp_f32 v13, v13, v17
	s_delay_alu instid0(VALU_DEP_1)
	v_cndmask_b32_e32 v13, 0, v13, vcc_lo
	v_cmp_ngt_f32_e32 vcc_lo, 0xc2ce8ed0, v10
	v_cndmask_b32_e32 v14, 0, v14, vcc_lo
	v_cmp_ngt_f32_e32 vcc_lo, 0xc2ce8ed0, v11
	v_cndmask_b32_e32 v15, 0, v15, vcc_lo
	v_cmp_nlt_f32_e32 vcc_lo, 0x42b17218, v9
	v_cndmask_b32_e32 v9, 0x7f800000, v13, vcc_lo
	v_cmp_nlt_f32_e32 vcc_lo, 0x42b17218, v10
	v_cndmask_b32_e32 v10, 0x7f800000, v14, vcc_lo
	v_cmp_ngt_f32_e32 vcc_lo, 0xc2ce8ed0, v12
	s_delay_alu instid0(VALU_DEP_2) | instskip(SKIP_3) | instid1(VALU_DEP_2)
	v_dual_add_f32 v14, v9, v10 :: v_dual_cndmask_b32 v13, 0, v16
	v_cmp_nlt_f32_e32 vcc_lo, 0x42b17218, v11
	v_cndmask_b32_e32 v11, 0x7f800000, v15, vcc_lo
	v_cmp_nlt_f32_e32 vcc_lo, 0x42b17218, v12
	v_dual_cndmask_b32 v12, 0x7f800000, v13 :: v_dual_add_f32 v13, v14, v11
	s_delay_alu instid0(VALU_DEP_1)
	v_add_f32_e32 v13, v13, v12
	ds_bpermute_b32 v14, v3, v13
	s_waitcnt lgkmcnt(0)
	v_add_f32_e32 v13, v13, v14
	ds_bpermute_b32 v14, v4, v13
	s_waitcnt lgkmcnt(0)
	;; [unrolled: 3-line block ×4, first 2 shown]
	v_add_f32_e32 v13, v13, v14
	s_delay_alu instid0(VALU_DEP_1) | instskip(SKIP_1) | instid1(VALU_DEP_2)
	v_div_scale_f32 v14, null, v13, v13, 1.0
	v_div_scale_f32 v17, vcc_lo, 1.0, v13, 1.0
	v_rcp_f32_e32 v15, v14
	s_waitcnt_depctr 0xfff
	v_fma_f32 v16, -v14, v15, 1.0
	s_delay_alu instid0(VALU_DEP_1) | instskip(NEXT) | instid1(VALU_DEP_1)
	v_fmac_f32_e32 v15, v16, v15
	v_mul_f32_e32 v16, v17, v15
	s_delay_alu instid0(VALU_DEP_1) | instskip(NEXT) | instid1(VALU_DEP_1)
	v_fma_f32 v18, -v14, v16, v17
	v_fmac_f32_e32 v16, v18, v15
	s_delay_alu instid0(VALU_DEP_1) | instskip(NEXT) | instid1(VALU_DEP_1)
	v_fma_f32 v14, -v14, v16, v17
	v_div_fmas_f32 v14, v14, v15, v16
	s_delay_alu instid0(VALU_DEP_1) | instskip(NEXT) | instid1(VALU_DEP_1)
	v_div_fixup_f32 v13, v14, v13, 1.0
	v_mul_f32_e32 v7, v13, v9
	v_mul_f32_e32 v8, v13, v10
	;; [unrolled: 1-line block ×4, first 2 shown]
	ds_store_b128 v0, v[7:10]
	s_cbranch_scc1 .LBB12_26
; %bb.4:
	s_load_b128 s[8:11], s[2:3], 0x20
	v_mul_lo_u32 v7, v1, s4
	v_dual_mov_b32 v9, 0xc61c4000 :: v_dual_lshlrev_b32 v8, 2, v2
	v_cmp_eq_u32_e32 vcc_lo, 0, v2
	s_branch .LBB12_6
.LBB12_5:                               ;   in Loop: Header=BB12_6 Depth=1
	s_or_b32 exec_lo, exec_lo, s0
	v_add_nc_u32_e32 v1, s14, v1
	s_cmp_lg_u32 s4, s7
	s_cbranch_scc0 .LBB12_26
.LBB12_6:                               ; =>This Inner Loop Header: Depth=1
	ds_load_b128 v[10:13], v0
	s_mov_b32 s3, exec_lo
	s_waitcnt lgkmcnt(0)
	v_cmp_gt_f32_e64 s0, v11, v10
	s_delay_alu instid0(VALU_DEP_1) | instskip(SKIP_1) | instid1(VALU_DEP_2)
	v_cndmask_b32_e64 v10, v10, v11, s0
	v_cndmask_b32_e64 v11, 0, 1, s0
	v_cmp_gt_f32_e64 s0, v12, v10
	s_delay_alu instid0(VALU_DEP_1) | instskip(NEXT) | instid1(VALU_DEP_3)
	v_cndmask_b32_e64 v10, v10, v12, s0
	v_cndmask_b32_e64 v12, v11, 2, s0
	s_delay_alu instid0(VALU_DEP_2) | instskip(NEXT) | instid1(VALU_DEP_1)
	v_cmp_gt_f32_e64 s0, v13, v10
	v_cndmask_b32_e64 v11, v10, v13, s0
	s_delay_alu instid0(VALU_DEP_3)
	v_cndmask_b32_e64 v10, v12, 3, s0
	ds_bpermute_b32 v12, v3, v11
	v_or_b32_e32 v10, v8, v10
	ds_bpermute_b32 v13, v3, v10
	s_waitcnt lgkmcnt(1)
	v_cmp_lt_f32_e64 s2, v11, v12
	v_cmpx_nlt_f32_e32 v11, v12
	s_cbranch_execz .LBB12_8
; %bb.7:                                ;   in Loop: Header=BB12_6 Depth=1
	v_cmp_eq_f32_e64 s0, v11, v12
	s_waitcnt lgkmcnt(0)
	v_cmp_lt_i32_e64 s1, v13, v10
	s_delay_alu instid0(VALU_DEP_1) | instskip(SKIP_2) | instid1(SALU_CYCLE_1)
	s_and_b32 s0, s0, s1
	s_and_not1_b32 s1, s2, exec_lo
	s_and_b32 s0, s0, exec_lo
	s_or_b32 s2, s1, s0
.LBB12_8:                               ;   in Loop: Header=BB12_6 Depth=1
	s_or_b32 exec_lo, exec_lo, s3
	s_delay_alu instid0(VALU_DEP_2)
	s_and_saveexec_b32 s0, s2
	s_cbranch_execz .LBB12_10
; %bb.9:                                ;   in Loop: Header=BB12_6 Depth=1
	s_waitcnt lgkmcnt(0)
	v_dual_mov_b32 v11, v12 :: v_dual_mov_b32 v10, v13
.LBB12_10:                              ;   in Loop: Header=BB12_6 Depth=1
	s_or_b32 exec_lo, exec_lo, s0
	s_waitcnt lgkmcnt(0)
	ds_bpermute_b32 v13, v4, v11
	ds_bpermute_b32 v12, v4, v10
	s_mov_b32 s3, exec_lo
	s_waitcnt lgkmcnt(1)
	v_cmp_lt_f32_e64 s2, v11, v13
	v_cmpx_nlt_f32_e32 v11, v13
	s_cbranch_execz .LBB12_12
; %bb.11:                               ;   in Loop: Header=BB12_6 Depth=1
	v_cmp_eq_f32_e64 s0, v11, v13
	s_waitcnt lgkmcnt(0)
	v_cmp_lt_i32_e64 s1, v12, v10
	s_delay_alu instid0(VALU_DEP_1) | instskip(SKIP_2) | instid1(SALU_CYCLE_1)
	s_and_b32 s0, s0, s1
	s_and_not1_b32 s1, s2, exec_lo
	s_and_b32 s0, s0, exec_lo
	s_or_b32 s2, s1, s0
.LBB12_12:                              ;   in Loop: Header=BB12_6 Depth=1
	s_or_b32 exec_lo, exec_lo, s3
	s_delay_alu instid0(VALU_DEP_2)
	s_and_saveexec_b32 s0, s2
	s_cbranch_execz .LBB12_14
; %bb.13:                               ;   in Loop: Header=BB12_6 Depth=1
	s_waitcnt lgkmcnt(0)
	v_dual_mov_b32 v11, v13 :: v_dual_mov_b32 v10, v12
.LBB12_14:                              ;   in Loop: Header=BB12_6 Depth=1
	s_or_b32 exec_lo, exec_lo, s0
	ds_bpermute_b32 v13, v5, v11
	s_waitcnt lgkmcnt(1)
	ds_bpermute_b32 v12, v5, v10
	s_mov_b32 s3, exec_lo
	s_waitcnt lgkmcnt(1)
	v_cmp_lt_f32_e64 s2, v11, v13
	v_cmpx_nlt_f32_e32 v11, v13
	s_cbranch_execz .LBB12_16
; %bb.15:                               ;   in Loop: Header=BB12_6 Depth=1
	v_cmp_eq_f32_e64 s0, v11, v13
	s_waitcnt lgkmcnt(0)
	v_cmp_lt_i32_e64 s1, v12, v10
	s_delay_alu instid0(VALU_DEP_1) | instskip(SKIP_2) | instid1(SALU_CYCLE_1)
	s_and_b32 s0, s0, s1
	s_and_not1_b32 s1, s2, exec_lo
	s_and_b32 s0, s0, exec_lo
	s_or_b32 s2, s1, s0
.LBB12_16:                              ;   in Loop: Header=BB12_6 Depth=1
	s_or_b32 exec_lo, exec_lo, s3
	s_delay_alu instid0(VALU_DEP_2)
	s_and_saveexec_b32 s0, s2
	s_cbranch_execz .LBB12_18
; %bb.17:                               ;   in Loop: Header=BB12_6 Depth=1
	s_waitcnt lgkmcnt(0)
	v_dual_mov_b32 v11, v13 :: v_dual_mov_b32 v10, v12
.LBB12_18:                              ;   in Loop: Header=BB12_6 Depth=1
	s_or_b32 exec_lo, exec_lo, s0
	s_waitcnt lgkmcnt(0)
	ds_bpermute_b32 v12, v6, v11
	ds_bpermute_b32 v13, v6, v10
	s_mov_b32 s3, exec_lo
	s_waitcnt lgkmcnt(1)
	v_cmp_lt_f32_e64 s2, v11, v12
	v_cmpx_nlt_f32_e32 v11, v12
	s_cbranch_execnz .LBB12_24
; %bb.19:                               ;   in Loop: Header=BB12_6 Depth=1
	s_or_b32 exec_lo, exec_lo, s3
	s_delay_alu instid0(VALU_DEP_2)
	s_and_saveexec_b32 s0, s2
	s_cbranch_execnz .LBB12_25
.LBB12_20:                              ;   in Loop: Header=BB12_6 Depth=1
	s_or_b32 exec_lo, exec_lo, s0
	s_and_saveexec_b32 s2, vcc_lo
	s_cbranch_execz .LBB12_22
.LBB12_21:                              ;   in Loop: Header=BB12_6 Depth=1
	v_add_nc_u32_e32 v12, s7, v7
	v_cmp_le_i32_e64 s0, s5, v10
	v_cmp_gt_i32_e64 s1, s6, v10
	v_subrev_nc_u32_e32 v14, s5, v10
	s_waitcnt lgkmcnt(0)
	v_ashrrev_i32_e32 v13, 31, v12
	s_delay_alu instid0(VALU_DEP_3) | instskip(NEXT) | instid1(SALU_CYCLE_1)
	s_and_b32 s0, s0, s1
	s_and_b32 s0, s15, s0
	s_delay_alu instid0(VALU_DEP_1) | instskip(SKIP_1) | instid1(VALU_DEP_2)
	v_lshlrev_b64 v[12:13], 2, v[12:13]
	v_cndmask_b32_e64 v18, 64, v14, s0
	v_add_co_u32 v14, s0, s12, v12
	s_delay_alu instid0(VALU_DEP_1) | instskip(SKIP_1) | instid1(VALU_DEP_1)
	v_add_co_ci_u32_e64 v15, s0, s13, v13, s0
	v_add_co_u32 v16, s0, s8, v12
	v_add_co_ci_u32_e64 v17, s0, s9, v13, s0
	v_add_co_u32 v12, s0, s10, v12
	s_delay_alu instid0(VALU_DEP_1)
	v_add_co_ci_u32_e64 v13, s0, s11, v13, s0
	global_store_b32 v[14:15], v11, off
	global_store_b32 v[16:17], v18, off
	;; [unrolled: 1-line block ×3, first 2 shown]
.LBB12_22:                              ;   in Loop: Header=BB12_6 Depth=1
	s_or_b32 exec_lo, exec_lo, s2
	v_ashrrev_i32_e32 v11, 31, v10
	s_add_i32 s7, s7, 1
	s_delay_alu instid0(SALU_CYCLE_1) | instskip(SKIP_1) | instid1(VALU_DEP_1)
	s_cmp_lt_i32 s7, s4
	s_cselect_b32 s1, -1, 0
	v_lshrrev_b32_e32 v12, 30, v11
	s_delay_alu instid0(VALU_DEP_1) | instskip(SKIP_1) | instid1(VALU_DEP_1)
	v_add_nc_u32_e32 v12, v10, v12
	s_waitcnt lgkmcnt(0)
	v_ashrrev_i32_e32 v13, 31, v12
	v_ashrrev_i32_e32 v12, 2, v12
	s_delay_alu instid0(VALU_DEP_2) | instskip(NEXT) | instid1(VALU_DEP_1)
	v_lshrrev_b32_e32 v13, 28, v13
	v_add_nc_u32_e32 v13, v12, v13
	s_delay_alu instid0(VALU_DEP_1) | instskip(NEXT) | instid1(VALU_DEP_1)
	v_and_b32_e32 v13, -16, v13
	v_sub_nc_u32_e32 v13, v12, v13
	s_delay_alu instid0(VALU_DEP_1) | instskip(NEXT) | instid1(VALU_DEP_1)
	v_cmp_eq_u32_e64 s0, v2, v13
	s_and_b32 s1, s1, s0
	s_delay_alu instid0(SALU_CYCLE_1)
	s_and_saveexec_b32 s0, s1
	s_cbranch_execz .LBB12_5
; %bb.23:                               ;   in Loop: Header=BB12_6 Depth=1
	v_lshrrev_b32_e32 v11, 26, v11
	v_lshlrev_b32_e32 v12, 2, v12
	s_delay_alu instid0(VALU_DEP_2) | instskip(NEXT) | instid1(VALU_DEP_2)
	v_add_nc_u32_e32 v11, v10, v11
	v_sub_nc_u32_e32 v10, v10, v12
	s_delay_alu instid0(VALU_DEP_2) | instskip(NEXT) | instid1(VALU_DEP_1)
	v_ashrrev_i32_e32 v11, 6, v11
	v_lshl_add_u32 v10, v11, 2, v10
	s_delay_alu instid0(VALU_DEP_1)
	v_lshl_add_u32 v10, v10, 2, v0
	ds_store_b32 v10, v9
	s_branch .LBB12_5
.LBB12_24:                              ;   in Loop: Header=BB12_6 Depth=1
	v_cmp_eq_f32_e64 s0, v11, v12
	s_waitcnt lgkmcnt(0)
	v_cmp_lt_i32_e64 s1, v13, v10
	s_delay_alu instid0(VALU_DEP_1) | instskip(SKIP_2) | instid1(SALU_CYCLE_1)
	s_and_b32 s0, s0, s1
	s_and_not1_b32 s1, s2, exec_lo
	s_and_b32 s0, s0, exec_lo
	s_or_b32 s2, s1, s0
	s_or_b32 exec_lo, exec_lo, s3
	s_and_saveexec_b32 s0, s2
	s_cbranch_execz .LBB12_20
.LBB12_25:                              ;   in Loop: Header=BB12_6 Depth=1
	s_waitcnt lgkmcnt(0)
	v_dual_mov_b32 v11, v12 :: v_dual_mov_b32 v10, v13
	s_or_b32 exec_lo, exec_lo, s0
	s_and_saveexec_b32 s2, vcc_lo
	s_cbranch_execnz .LBB12_21
	s_branch .LBB12_22
.LBB12_26:
	s_nop 0
	s_sendmsg sendmsg(MSG_DEALLOC_VGPRS)
	s_endpgm
	.section	.rodata,"a",@progbits
	.p2align	6, 0x0
	.amdhsa_kernel _ZN4vllm3moe17topkGatingSoftmaxILi4ELi64ELi4ELi16ELi64EiEEvPKfPKbPfiPT4_Piiii
		.amdhsa_group_segment_fixed_size 4096
		.amdhsa_private_segment_fixed_size 0
		.amdhsa_kernarg_size 60
		.amdhsa_user_sgpr_count 15
		.amdhsa_user_sgpr_dispatch_ptr 1
		.amdhsa_user_sgpr_queue_ptr 0
		.amdhsa_user_sgpr_kernarg_segment_ptr 1
		.amdhsa_user_sgpr_dispatch_id 0
		.amdhsa_user_sgpr_private_segment_size 0
		.amdhsa_wavefront_size32 1
		.amdhsa_uses_dynamic_stack 0
		.amdhsa_enable_private_segment 0
		.amdhsa_system_sgpr_workgroup_id_x 1
		.amdhsa_system_sgpr_workgroup_id_y 0
		.amdhsa_system_sgpr_workgroup_id_z 0
		.amdhsa_system_sgpr_workgroup_info 0
		.amdhsa_system_vgpr_workitem_id 2
		.amdhsa_next_free_vgpr 25
		.amdhsa_next_free_sgpr 16
		.amdhsa_reserve_vcc 1
		.amdhsa_float_round_mode_32 0
		.amdhsa_float_round_mode_16_64 0
		.amdhsa_float_denorm_mode_32 3
		.amdhsa_float_denorm_mode_16_64 3
		.amdhsa_dx10_clamp 1
		.amdhsa_ieee_mode 1
		.amdhsa_fp16_overflow 0
		.amdhsa_workgroup_processor_mode 1
		.amdhsa_memory_ordered 1
		.amdhsa_forward_progress 0
		.amdhsa_shared_vgpr_count 0
		.amdhsa_exception_fp_ieee_invalid_op 0
		.amdhsa_exception_fp_denorm_src 0
		.amdhsa_exception_fp_ieee_div_zero 0
		.amdhsa_exception_fp_ieee_overflow 0
		.amdhsa_exception_fp_ieee_underflow 0
		.amdhsa_exception_fp_ieee_inexact 0
		.amdhsa_exception_int_div_zero 0
	.end_amdhsa_kernel
	.section	.text._ZN4vllm3moe17topkGatingSoftmaxILi4ELi64ELi4ELi16ELi64EiEEvPKfPKbPfiPT4_Piiii,"axG",@progbits,_ZN4vllm3moe17topkGatingSoftmaxILi4ELi64ELi4ELi16ELi64EiEEvPKfPKbPfiPT4_Piiii,comdat
.Lfunc_end12:
	.size	_ZN4vllm3moe17topkGatingSoftmaxILi4ELi64ELi4ELi16ELi64EiEEvPKfPKbPfiPT4_Piiii, .Lfunc_end12-_ZN4vllm3moe17topkGatingSoftmaxILi4ELi64ELi4ELi16ELi64EiEEvPKfPKbPfiPT4_Piiii
                                        ; -- End function
	.section	.AMDGPU.csdata,"",@progbits
; Kernel info:
; codeLenInByte = 2080
; NumSgprs: 18
; NumVgprs: 25
; ScratchSize: 0
; MemoryBound: 0
; FloatMode: 240
; IeeeMode: 1
; LDSByteSize: 4096 bytes/workgroup (compile time only)
; SGPRBlocks: 2
; VGPRBlocks: 3
; NumSGPRsForWavesPerEU: 18
; NumVGPRsForWavesPerEU: 25
; Occupancy: 16
; WaveLimiterHint : 0
; COMPUTE_PGM_RSRC2:SCRATCH_EN: 0
; COMPUTE_PGM_RSRC2:USER_SGPR: 15
; COMPUTE_PGM_RSRC2:TRAP_HANDLER: 0
; COMPUTE_PGM_RSRC2:TGID_X_EN: 1
; COMPUTE_PGM_RSRC2:TGID_Y_EN: 0
; COMPUTE_PGM_RSRC2:TGID_Z_EN: 0
; COMPUTE_PGM_RSRC2:TIDIG_COMP_CNT: 2
	.section	.text._ZN4vllm3moe17topkGatingSoftmaxILi4ELi64ELi4ELi16ELi32EiEEvPKfPKbPfiPT4_Piiii,"axG",@progbits,_ZN4vllm3moe17topkGatingSoftmaxILi4ELi64ELi4ELi16ELi32EiEEvPKfPKbPfiPT4_Piiii,comdat
	.protected	_ZN4vllm3moe17topkGatingSoftmaxILi4ELi64ELi4ELi16ELi32EiEEvPKfPKbPfiPT4_Piiii ; -- Begin function _ZN4vllm3moe17topkGatingSoftmaxILi4ELi64ELi4ELi16ELi32EiEEvPKfPKbPfiPT4_Piiii
	.globl	_ZN4vllm3moe17topkGatingSoftmaxILi4ELi64ELi4ELi16ELi32EiEEvPKfPKbPfiPT4_Piiii
	.p2align	8
	.type	_ZN4vllm3moe17topkGatingSoftmaxILi4ELi64ELi4ELi16ELi32EiEEvPKfPKbPfiPT4_Piiii,@function
_ZN4vllm3moe17topkGatingSoftmaxILi4ELi64ELi4ELi16ELi32EiEEvPKfPKbPfiPT4_Piiii: ; @_ZN4vllm3moe17topkGatingSoftmaxILi4ELi64ELi4ELi16ELi32EiEEvPKfPKbPfiPT4_Piiii
; %bb.0:
	s_load_b32 s14, s[2:3], 0x18
	v_bfe_u32 v8, v0, 10, 10
	v_and_b32_e32 v7, 0x3ff, v0
	s_lshl_b32 s4, s15, 3
	s_delay_alu instid0(VALU_DEP_2) | instskip(NEXT) | instid1(VALU_DEP_2)
	v_lshlrev_b32_e32 v1, 1, v8
	v_lshrrev_b32_e32 v2, 4, v7
	s_delay_alu instid0(VALU_DEP_1) | instskip(SKIP_2) | instid1(VALU_DEP_1)
	v_add3_u32 v1, s4, v1, v2
	s_mov_b32 s4, exec_lo
	s_waitcnt lgkmcnt(0)
	v_cmpx_gt_i32_e64 s14, v1
	s_cbranch_execz .LBB13_26
; %bb.1:
	s_clause 0x1
	s_load_b128 s[4:7], s[2:3], 0x0
	s_load_b64 s[12:13], s[2:3], 0x10
	s_mov_b32 s15, -1
	s_waitcnt lgkmcnt(0)
	s_cmp_eq_u64 s[6:7], 0
	s_cbranch_scc1 .LBB13_3
; %bb.2:
	v_ashrrev_i32_e32 v3, 31, v1
	v_add_co_u32 v2, vcc_lo, s6, v1
	s_delay_alu instid0(VALU_DEP_2) | instskip(SKIP_3) | instid1(VALU_DEP_1)
	v_add_co_ci_u32_e32 v3, vcc_lo, s7, v3, vcc_lo
	global_load_u8 v2, v[2:3], off
	s_waitcnt vmcnt(0)
	v_and_b32_e32 v2, 1, v2
	v_cmp_eq_u32_e32 vcc_lo, 1, v2
	s_xor_b32 s6, vcc_lo, -1
	s_delay_alu instid0(SALU_CYCLE_1)
	s_or_not1_b32 s15, s6, exec_lo
.LBB13_3:
	v_mbcnt_lo_u32_b32 v6, -1, 0
	v_lshlrev_b32_e32 v3, 6, v1
	v_and_b32_e32 v2, 15, v7
	s_load_b64 s[0:1], s[0:1], 0x4
	v_bfe_u32 v0, v0, 20, 10
	v_xor_b32_e32 v14, 4, v6
	v_ashrrev_i32_e32 v4, 31, v3
	v_lshlrev_b32_e32 v5, 4, v2
	s_delay_alu instid0(VALU_DEP_2) | instskip(NEXT) | instid1(VALU_DEP_1)
	v_lshlrev_b64 v[3:4], 2, v[3:4]
	v_add_co_u32 v3, vcc_lo, s4, v3
	s_delay_alu instid0(VALU_DEP_2) | instskip(SKIP_1) | instid1(VALU_DEP_2)
	v_add_co_ci_u32_e32 v4, vcc_lo, s5, v4, vcc_lo
	s_load_b128 s[4:7], s[2:3], 0x30
	v_add_co_u32 v3, vcc_lo, v3, v5
	s_delay_alu instid0(VALU_DEP_2)
	v_add_co_ci_u32_e32 v4, vcc_lo, 0, v4, vcc_lo
	s_waitcnt lgkmcnt(0)
	v_mul_u32_u24_e32 v8, s1, v8
	s_lshr_b32 s0, s0, 16
	s_mov_b32 s7, 0
	global_load_b128 v[9:12], v[3:4], off
	v_and_b32_e32 v3, 16, v6
	v_xor_b32_e32 v4, 8, v6
	s_mul_i32 s0, s0, s1
	s_delay_alu instid0(SALU_CYCLE_1) | instskip(NEXT) | instid1(VALU_DEP_3)
	v_mad_u32_u24 v7, s0, v7, v8
	v_add_nc_u32_e32 v13, 16, v3
	s_delay_alu instid0(VALU_DEP_2) | instskip(NEXT) | instid1(VALU_DEP_2)
	v_add_lshl_u32 v0, v7, v0, 4
	v_cmp_lt_i32_e32 vcc_lo, v4, v13
	s_cmp_lt_i32 s4, 1
	v_cndmask_b32_e32 v4, v6, v4, vcc_lo
	v_cmp_lt_i32_e32 vcc_lo, v14, v13
	v_cndmask_b32_e32 v14, v6, v14, vcc_lo
	s_waitcnt vmcnt(0)
	v_max_f32_e32 v3, v10, v10
	v_max_f32_e32 v5, v9, v9
	s_delay_alu instid0(VALU_DEP_1) | instskip(SKIP_1) | instid1(VALU_DEP_2)
	v_max_f32_e32 v5, v5, v3
	v_lshlrev_b32_e32 v3, 2, v4
	v_max3_f32 v5, v5, v11, v12
	ds_bpermute_b32 v4, v3, v5
	s_waitcnt lgkmcnt(0)
	v_dual_max_f32 v15, v4, v4 :: v_dual_lshlrev_b32 v4, 2, v14
	s_delay_alu instid0(VALU_DEP_1)
	v_max_f32_e32 v14, v5, v15
	v_xor_b32_e32 v15, 2, v6
	ds_bpermute_b32 v5, v4, v14
	v_cmp_lt_i32_e32 vcc_lo, v15, v13
	s_waitcnt lgkmcnt(0)
	v_dual_cndmask_b32 v15, v6, v15 :: v_dual_max_f32 v16, v5, v5
	s_delay_alu instid0(VALU_DEP_1)
	v_dual_max_f32 v14, v14, v16 :: v_dual_lshlrev_b32 v5, 2, v15
	v_xor_b32_e32 v16, 1, v6
	ds_bpermute_b32 v15, v5, v14
	v_cmp_lt_i32_e32 vcc_lo, v16, v13
	v_cndmask_b32_e32 v6, v6, v16, vcc_lo
	s_waitcnt lgkmcnt(0)
	s_delay_alu instid0(VALU_DEP_1) | instskip(NEXT) | instid1(VALU_DEP_1)
	v_dual_max_f32 v13, v15, v15 :: v_dual_lshlrev_b32 v6, 2, v6
	v_max_f32_e32 v13, v14, v13
	ds_bpermute_b32 v14, v6, v13
	s_waitcnt lgkmcnt(0)
	v_max_f32_e32 v14, v14, v14
	s_delay_alu instid0(VALU_DEP_1) | instskip(NEXT) | instid1(VALU_DEP_1)
	v_max_f32_e32 v13, v13, v14
	v_sub_f32_e32 v10, v10, v13
	s_delay_alu instid0(VALU_DEP_1) | instskip(NEXT) | instid1(VALU_DEP_1)
	v_mul_f32_e32 v14, 0x3fb8aa3b, v10
	v_rndne_f32_e32 v20, v14
	v_fma_f32 v19, 0x3fb8aa3b, v10, -v14
	s_delay_alu instid0(VALU_DEP_2) | instskip(SKIP_1) | instid1(VALU_DEP_1)
	v_sub_f32_e32 v14, v14, v20
	v_sub_f32_e32 v12, v12, v13
	v_dual_sub_f32 v11, v11, v13 :: v_dual_mul_f32 v16, 0x3fb8aa3b, v12
	s_delay_alu instid0(VALU_DEP_1) | instskip(SKIP_1) | instid1(VALU_DEP_3)
	v_mul_f32_e32 v15, 0x3fb8aa3b, v11
	v_fmac_f32_e32 v19, 0x32a5705f, v10
	v_fma_f32 v23, 0x3fb8aa3b, v12, -v16
	v_rndne_f32_e32 v24, v16
	v_sub_f32_e32 v9, v9, v13
	v_rndne_f32_e32 v22, v15
	s_delay_alu instid0(VALU_DEP_4) | instskip(NEXT) | instid1(VALU_DEP_3)
	v_dual_add_f32 v14, v14, v19 :: v_dual_fmac_f32 v23, 0x32a5705f, v12
	v_dual_sub_f32 v16, v16, v24 :: v_dual_mul_f32 v13, 0x3fb8aa3b, v9
	v_fma_f32 v21, 0x3fb8aa3b, v11, -v15
	s_delay_alu instid0(VALU_DEP_4) | instskip(NEXT) | instid1(VALU_DEP_4)
	v_sub_f32_e32 v15, v15, v22
	v_exp_f32_e32 v14, v14
	s_delay_alu instid0(VALU_DEP_3)
	v_add_f32_e32 v16, v16, v23
	v_fma_f32 v17, 0x3fb8aa3b, v9, -v13
	v_rndne_f32_e32 v18, v13
	v_fmac_f32_e32 v21, 0x32a5705f, v11
	v_cmp_ngt_f32_e32 vcc_lo, 0xc2ce8ed0, v9
	v_cvt_i32_f32_e32 v19, v22
	v_fmac_f32_e32 v17, 0x32a5705f, v9
	v_sub_f32_e32 v13, v13, v18
	v_add_f32_e32 v15, v15, v21
	v_exp_f32_e32 v16, v16
	s_delay_alu instid0(VALU_DEP_2) | instskip(SKIP_1) | instid1(VALU_DEP_3)
	v_add_f32_e32 v13, v13, v17
	v_cvt_i32_f32_e32 v17, v18
	v_exp_f32_e32 v15, v15
	v_cvt_i32_f32_e32 v18, v20
	v_cvt_i32_f32_e32 v20, v24
	v_exp_f32_e32 v13, v13
	s_delay_alu instid0(VALU_DEP_2)
	v_ldexp_f32 v14, v14, v18
	s_delay_alu instid0(TRANS32_DEP_3) | instid1(VALU_DEP_2)
	v_ldexp_f32 v16, v16, v20
	s_waitcnt_depctr 0xfff
	v_ldexp_f32 v15, v15, v19
	v_ldexp_f32 v13, v13, v17
	s_delay_alu instid0(VALU_DEP_1)
	v_cndmask_b32_e32 v13, 0, v13, vcc_lo
	v_cmp_ngt_f32_e32 vcc_lo, 0xc2ce8ed0, v10
	v_cndmask_b32_e32 v14, 0, v14, vcc_lo
	v_cmp_ngt_f32_e32 vcc_lo, 0xc2ce8ed0, v11
	v_cndmask_b32_e32 v15, 0, v15, vcc_lo
	v_cmp_nlt_f32_e32 vcc_lo, 0x42b17218, v9
	v_cndmask_b32_e32 v9, 0x7f800000, v13, vcc_lo
	v_cmp_nlt_f32_e32 vcc_lo, 0x42b17218, v10
	v_cndmask_b32_e32 v10, 0x7f800000, v14, vcc_lo
	v_cmp_ngt_f32_e32 vcc_lo, 0xc2ce8ed0, v12
	s_delay_alu instid0(VALU_DEP_2) | instskip(SKIP_3) | instid1(VALU_DEP_2)
	v_dual_add_f32 v14, v9, v10 :: v_dual_cndmask_b32 v13, 0, v16
	v_cmp_nlt_f32_e32 vcc_lo, 0x42b17218, v11
	v_cndmask_b32_e32 v11, 0x7f800000, v15, vcc_lo
	v_cmp_nlt_f32_e32 vcc_lo, 0x42b17218, v12
	v_dual_cndmask_b32 v12, 0x7f800000, v13 :: v_dual_add_f32 v13, v14, v11
	s_delay_alu instid0(VALU_DEP_1)
	v_add_f32_e32 v13, v13, v12
	ds_bpermute_b32 v14, v3, v13
	s_waitcnt lgkmcnt(0)
	v_add_f32_e32 v13, v13, v14
	ds_bpermute_b32 v14, v4, v13
	s_waitcnt lgkmcnt(0)
	;; [unrolled: 3-line block ×4, first 2 shown]
	v_add_f32_e32 v13, v13, v14
	s_delay_alu instid0(VALU_DEP_1) | instskip(SKIP_1) | instid1(VALU_DEP_2)
	v_div_scale_f32 v14, null, v13, v13, 1.0
	v_div_scale_f32 v17, vcc_lo, 1.0, v13, 1.0
	v_rcp_f32_e32 v15, v14
	s_waitcnt_depctr 0xfff
	v_fma_f32 v16, -v14, v15, 1.0
	s_delay_alu instid0(VALU_DEP_1) | instskip(NEXT) | instid1(VALU_DEP_1)
	v_fmac_f32_e32 v15, v16, v15
	v_mul_f32_e32 v16, v17, v15
	s_delay_alu instid0(VALU_DEP_1) | instskip(NEXT) | instid1(VALU_DEP_1)
	v_fma_f32 v18, -v14, v16, v17
	v_fmac_f32_e32 v16, v18, v15
	s_delay_alu instid0(VALU_DEP_1) | instskip(NEXT) | instid1(VALU_DEP_1)
	v_fma_f32 v14, -v14, v16, v17
	v_div_fmas_f32 v14, v14, v15, v16
	s_delay_alu instid0(VALU_DEP_1) | instskip(NEXT) | instid1(VALU_DEP_1)
	v_div_fixup_f32 v13, v14, v13, 1.0
	v_mul_f32_e32 v7, v13, v9
	v_mul_f32_e32 v8, v13, v10
	;; [unrolled: 1-line block ×4, first 2 shown]
	ds_store_b128 v0, v[7:10]
	s_cbranch_scc1 .LBB13_26
; %bb.4:
	s_load_b128 s[8:11], s[2:3], 0x20
	v_mul_lo_u32 v7, v1, s4
	v_dual_mov_b32 v9, 0xc61c4000 :: v_dual_lshlrev_b32 v8, 2, v2
	v_cmp_eq_u32_e32 vcc_lo, 0, v2
	s_branch .LBB13_6
.LBB13_5:                               ;   in Loop: Header=BB13_6 Depth=1
	s_or_b32 exec_lo, exec_lo, s0
	v_add_nc_u32_e32 v1, s14, v1
	s_cmp_lg_u32 s4, s7
	s_cbranch_scc0 .LBB13_26
.LBB13_6:                               ; =>This Inner Loop Header: Depth=1
	ds_load_b128 v[10:13], v0
	s_mov_b32 s3, exec_lo
	s_waitcnt lgkmcnt(0)
	v_cmp_gt_f32_e64 s0, v11, v10
	s_delay_alu instid0(VALU_DEP_1) | instskip(SKIP_1) | instid1(VALU_DEP_2)
	v_cndmask_b32_e64 v10, v10, v11, s0
	v_cndmask_b32_e64 v11, 0, 1, s0
	v_cmp_gt_f32_e64 s0, v12, v10
	s_delay_alu instid0(VALU_DEP_1) | instskip(NEXT) | instid1(VALU_DEP_3)
	v_cndmask_b32_e64 v10, v10, v12, s0
	v_cndmask_b32_e64 v12, v11, 2, s0
	s_delay_alu instid0(VALU_DEP_2) | instskip(NEXT) | instid1(VALU_DEP_1)
	v_cmp_gt_f32_e64 s0, v13, v10
	v_cndmask_b32_e64 v11, v10, v13, s0
	s_delay_alu instid0(VALU_DEP_3)
	v_cndmask_b32_e64 v10, v12, 3, s0
	ds_bpermute_b32 v12, v3, v11
	v_or_b32_e32 v10, v8, v10
	ds_bpermute_b32 v13, v3, v10
	s_waitcnt lgkmcnt(1)
	v_cmp_lt_f32_e64 s2, v11, v12
	v_cmpx_nlt_f32_e32 v11, v12
	s_cbranch_execz .LBB13_8
; %bb.7:                                ;   in Loop: Header=BB13_6 Depth=1
	v_cmp_eq_f32_e64 s0, v11, v12
	s_waitcnt lgkmcnt(0)
	v_cmp_lt_i32_e64 s1, v13, v10
	s_delay_alu instid0(VALU_DEP_1) | instskip(SKIP_2) | instid1(SALU_CYCLE_1)
	s_and_b32 s0, s0, s1
	s_and_not1_b32 s1, s2, exec_lo
	s_and_b32 s0, s0, exec_lo
	s_or_b32 s2, s1, s0
.LBB13_8:                               ;   in Loop: Header=BB13_6 Depth=1
	s_or_b32 exec_lo, exec_lo, s3
	s_delay_alu instid0(VALU_DEP_2)
	s_and_saveexec_b32 s0, s2
	s_cbranch_execz .LBB13_10
; %bb.9:                                ;   in Loop: Header=BB13_6 Depth=1
	s_waitcnt lgkmcnt(0)
	v_dual_mov_b32 v11, v12 :: v_dual_mov_b32 v10, v13
.LBB13_10:                              ;   in Loop: Header=BB13_6 Depth=1
	s_or_b32 exec_lo, exec_lo, s0
	s_waitcnt lgkmcnt(0)
	ds_bpermute_b32 v13, v4, v11
	ds_bpermute_b32 v12, v4, v10
	s_mov_b32 s3, exec_lo
	s_waitcnt lgkmcnt(1)
	v_cmp_lt_f32_e64 s2, v11, v13
	v_cmpx_nlt_f32_e32 v11, v13
	s_cbranch_execz .LBB13_12
; %bb.11:                               ;   in Loop: Header=BB13_6 Depth=1
	v_cmp_eq_f32_e64 s0, v11, v13
	s_waitcnt lgkmcnt(0)
	v_cmp_lt_i32_e64 s1, v12, v10
	s_delay_alu instid0(VALU_DEP_1) | instskip(SKIP_2) | instid1(SALU_CYCLE_1)
	s_and_b32 s0, s0, s1
	s_and_not1_b32 s1, s2, exec_lo
	s_and_b32 s0, s0, exec_lo
	s_or_b32 s2, s1, s0
.LBB13_12:                              ;   in Loop: Header=BB13_6 Depth=1
	s_or_b32 exec_lo, exec_lo, s3
	s_delay_alu instid0(VALU_DEP_2)
	s_and_saveexec_b32 s0, s2
	s_cbranch_execz .LBB13_14
; %bb.13:                               ;   in Loop: Header=BB13_6 Depth=1
	s_waitcnt lgkmcnt(0)
	v_dual_mov_b32 v11, v13 :: v_dual_mov_b32 v10, v12
.LBB13_14:                              ;   in Loop: Header=BB13_6 Depth=1
	s_or_b32 exec_lo, exec_lo, s0
	ds_bpermute_b32 v13, v5, v11
	s_waitcnt lgkmcnt(1)
	ds_bpermute_b32 v12, v5, v10
	s_mov_b32 s3, exec_lo
	s_waitcnt lgkmcnt(1)
	v_cmp_lt_f32_e64 s2, v11, v13
	v_cmpx_nlt_f32_e32 v11, v13
	s_cbranch_execz .LBB13_16
; %bb.15:                               ;   in Loop: Header=BB13_6 Depth=1
	v_cmp_eq_f32_e64 s0, v11, v13
	s_waitcnt lgkmcnt(0)
	v_cmp_lt_i32_e64 s1, v12, v10
	s_delay_alu instid0(VALU_DEP_1) | instskip(SKIP_2) | instid1(SALU_CYCLE_1)
	s_and_b32 s0, s0, s1
	s_and_not1_b32 s1, s2, exec_lo
	s_and_b32 s0, s0, exec_lo
	s_or_b32 s2, s1, s0
.LBB13_16:                              ;   in Loop: Header=BB13_6 Depth=1
	s_or_b32 exec_lo, exec_lo, s3
	s_delay_alu instid0(VALU_DEP_2)
	s_and_saveexec_b32 s0, s2
	s_cbranch_execz .LBB13_18
; %bb.17:                               ;   in Loop: Header=BB13_6 Depth=1
	s_waitcnt lgkmcnt(0)
	v_dual_mov_b32 v11, v13 :: v_dual_mov_b32 v10, v12
.LBB13_18:                              ;   in Loop: Header=BB13_6 Depth=1
	s_or_b32 exec_lo, exec_lo, s0
	s_waitcnt lgkmcnt(0)
	ds_bpermute_b32 v12, v6, v11
	ds_bpermute_b32 v13, v6, v10
	s_mov_b32 s3, exec_lo
	s_waitcnt lgkmcnt(1)
	v_cmp_lt_f32_e64 s2, v11, v12
	v_cmpx_nlt_f32_e32 v11, v12
	s_cbranch_execnz .LBB13_24
; %bb.19:                               ;   in Loop: Header=BB13_6 Depth=1
	s_or_b32 exec_lo, exec_lo, s3
	s_delay_alu instid0(VALU_DEP_2)
	s_and_saveexec_b32 s0, s2
	s_cbranch_execnz .LBB13_25
.LBB13_20:                              ;   in Loop: Header=BB13_6 Depth=1
	s_or_b32 exec_lo, exec_lo, s0
	s_and_saveexec_b32 s2, vcc_lo
	s_cbranch_execz .LBB13_22
.LBB13_21:                              ;   in Loop: Header=BB13_6 Depth=1
	v_add_nc_u32_e32 v12, s7, v7
	v_cmp_le_i32_e64 s0, s5, v10
	v_cmp_gt_i32_e64 s1, s6, v10
	v_subrev_nc_u32_e32 v14, s5, v10
	s_waitcnt lgkmcnt(0)
	v_ashrrev_i32_e32 v13, 31, v12
	s_delay_alu instid0(VALU_DEP_3) | instskip(NEXT) | instid1(SALU_CYCLE_1)
	s_and_b32 s0, s0, s1
	s_and_b32 s0, s15, s0
	s_delay_alu instid0(VALU_DEP_1) | instskip(SKIP_1) | instid1(VALU_DEP_2)
	v_lshlrev_b64 v[12:13], 2, v[12:13]
	v_cndmask_b32_e64 v18, 64, v14, s0
	v_add_co_u32 v14, s0, s12, v12
	s_delay_alu instid0(VALU_DEP_1) | instskip(SKIP_1) | instid1(VALU_DEP_1)
	v_add_co_ci_u32_e64 v15, s0, s13, v13, s0
	v_add_co_u32 v16, s0, s8, v12
	v_add_co_ci_u32_e64 v17, s0, s9, v13, s0
	v_add_co_u32 v12, s0, s10, v12
	s_delay_alu instid0(VALU_DEP_1)
	v_add_co_ci_u32_e64 v13, s0, s11, v13, s0
	global_store_b32 v[14:15], v11, off
	global_store_b32 v[16:17], v18, off
	;; [unrolled: 1-line block ×3, first 2 shown]
.LBB13_22:                              ;   in Loop: Header=BB13_6 Depth=1
	s_or_b32 exec_lo, exec_lo, s2
	v_ashrrev_i32_e32 v11, 31, v10
	s_add_i32 s7, s7, 1
	s_delay_alu instid0(SALU_CYCLE_1) | instskip(SKIP_1) | instid1(VALU_DEP_1)
	s_cmp_lt_i32 s7, s4
	s_cselect_b32 s1, -1, 0
	v_lshrrev_b32_e32 v12, 30, v11
	s_delay_alu instid0(VALU_DEP_1) | instskip(SKIP_1) | instid1(VALU_DEP_1)
	v_add_nc_u32_e32 v12, v10, v12
	s_waitcnt lgkmcnt(0)
	v_ashrrev_i32_e32 v13, 31, v12
	v_ashrrev_i32_e32 v12, 2, v12
	s_delay_alu instid0(VALU_DEP_2) | instskip(NEXT) | instid1(VALU_DEP_1)
	v_lshrrev_b32_e32 v13, 28, v13
	v_add_nc_u32_e32 v13, v12, v13
	s_delay_alu instid0(VALU_DEP_1) | instskip(NEXT) | instid1(VALU_DEP_1)
	v_and_b32_e32 v13, -16, v13
	v_sub_nc_u32_e32 v13, v12, v13
	s_delay_alu instid0(VALU_DEP_1) | instskip(NEXT) | instid1(VALU_DEP_1)
	v_cmp_eq_u32_e64 s0, v2, v13
	s_and_b32 s1, s1, s0
	s_delay_alu instid0(SALU_CYCLE_1)
	s_and_saveexec_b32 s0, s1
	s_cbranch_execz .LBB13_5
; %bb.23:                               ;   in Loop: Header=BB13_6 Depth=1
	v_lshrrev_b32_e32 v11, 26, v11
	v_lshlrev_b32_e32 v12, 2, v12
	s_delay_alu instid0(VALU_DEP_2) | instskip(NEXT) | instid1(VALU_DEP_2)
	v_add_nc_u32_e32 v11, v10, v11
	v_sub_nc_u32_e32 v10, v10, v12
	s_delay_alu instid0(VALU_DEP_2) | instskip(NEXT) | instid1(VALU_DEP_1)
	v_ashrrev_i32_e32 v11, 6, v11
	v_lshl_add_u32 v10, v11, 2, v10
	s_delay_alu instid0(VALU_DEP_1)
	v_lshl_add_u32 v10, v10, 2, v0
	ds_store_b32 v10, v9
	s_branch .LBB13_5
.LBB13_24:                              ;   in Loop: Header=BB13_6 Depth=1
	v_cmp_eq_f32_e64 s0, v11, v12
	s_waitcnt lgkmcnt(0)
	v_cmp_lt_i32_e64 s1, v13, v10
	s_delay_alu instid0(VALU_DEP_1) | instskip(SKIP_2) | instid1(SALU_CYCLE_1)
	s_and_b32 s0, s0, s1
	s_and_not1_b32 s1, s2, exec_lo
	s_and_b32 s0, s0, exec_lo
	s_or_b32 s2, s1, s0
	s_or_b32 exec_lo, exec_lo, s3
	s_and_saveexec_b32 s0, s2
	s_cbranch_execz .LBB13_20
.LBB13_25:                              ;   in Loop: Header=BB13_6 Depth=1
	s_waitcnt lgkmcnt(0)
	v_dual_mov_b32 v11, v12 :: v_dual_mov_b32 v10, v13
	s_or_b32 exec_lo, exec_lo, s0
	s_and_saveexec_b32 s2, vcc_lo
	s_cbranch_execnz .LBB13_21
	s_branch .LBB13_22
.LBB13_26:
	s_nop 0
	s_sendmsg sendmsg(MSG_DEALLOC_VGPRS)
	s_endpgm
	.section	.rodata,"a",@progbits
	.p2align	6, 0x0
	.amdhsa_kernel _ZN4vllm3moe17topkGatingSoftmaxILi4ELi64ELi4ELi16ELi32EiEEvPKfPKbPfiPT4_Piiii
		.amdhsa_group_segment_fixed_size 2048
		.amdhsa_private_segment_fixed_size 0
		.amdhsa_kernarg_size 60
		.amdhsa_user_sgpr_count 15
		.amdhsa_user_sgpr_dispatch_ptr 1
		.amdhsa_user_sgpr_queue_ptr 0
		.amdhsa_user_sgpr_kernarg_segment_ptr 1
		.amdhsa_user_sgpr_dispatch_id 0
		.amdhsa_user_sgpr_private_segment_size 0
		.amdhsa_wavefront_size32 1
		.amdhsa_uses_dynamic_stack 0
		.amdhsa_enable_private_segment 0
		.amdhsa_system_sgpr_workgroup_id_x 1
		.amdhsa_system_sgpr_workgroup_id_y 0
		.amdhsa_system_sgpr_workgroup_id_z 0
		.amdhsa_system_sgpr_workgroup_info 0
		.amdhsa_system_vgpr_workitem_id 2
		.amdhsa_next_free_vgpr 25
		.amdhsa_next_free_sgpr 16
		.amdhsa_reserve_vcc 1
		.amdhsa_float_round_mode_32 0
		.amdhsa_float_round_mode_16_64 0
		.amdhsa_float_denorm_mode_32 3
		.amdhsa_float_denorm_mode_16_64 3
		.amdhsa_dx10_clamp 1
		.amdhsa_ieee_mode 1
		.amdhsa_fp16_overflow 0
		.amdhsa_workgroup_processor_mode 1
		.amdhsa_memory_ordered 1
		.amdhsa_forward_progress 0
		.amdhsa_shared_vgpr_count 0
		.amdhsa_exception_fp_ieee_invalid_op 0
		.amdhsa_exception_fp_denorm_src 0
		.amdhsa_exception_fp_ieee_div_zero 0
		.amdhsa_exception_fp_ieee_overflow 0
		.amdhsa_exception_fp_ieee_underflow 0
		.amdhsa_exception_fp_ieee_inexact 0
		.amdhsa_exception_int_div_zero 0
	.end_amdhsa_kernel
	.section	.text._ZN4vllm3moe17topkGatingSoftmaxILi4ELi64ELi4ELi16ELi32EiEEvPKfPKbPfiPT4_Piiii,"axG",@progbits,_ZN4vllm3moe17topkGatingSoftmaxILi4ELi64ELi4ELi16ELi32EiEEvPKfPKbPfiPT4_Piiii,comdat
.Lfunc_end13:
	.size	_ZN4vllm3moe17topkGatingSoftmaxILi4ELi64ELi4ELi16ELi32EiEEvPKfPKbPfiPT4_Piiii, .Lfunc_end13-_ZN4vllm3moe17topkGatingSoftmaxILi4ELi64ELi4ELi16ELi32EiEEvPKfPKbPfiPT4_Piiii
                                        ; -- End function
	.section	.AMDGPU.csdata,"",@progbits
; Kernel info:
; codeLenInByte = 2076
; NumSgprs: 18
; NumVgprs: 25
; ScratchSize: 0
; MemoryBound: 0
; FloatMode: 240
; IeeeMode: 1
; LDSByteSize: 2048 bytes/workgroup (compile time only)
; SGPRBlocks: 2
; VGPRBlocks: 3
; NumSGPRsForWavesPerEU: 18
; NumVGPRsForWavesPerEU: 25
; Occupancy: 16
; WaveLimiterHint : 0
; COMPUTE_PGM_RSRC2:SCRATCH_EN: 0
; COMPUTE_PGM_RSRC2:USER_SGPR: 15
; COMPUTE_PGM_RSRC2:TRAP_HANDLER: 0
; COMPUTE_PGM_RSRC2:TGID_X_EN: 1
; COMPUTE_PGM_RSRC2:TGID_Y_EN: 0
; COMPUTE_PGM_RSRC2:TGID_Z_EN: 0
; COMPUTE_PGM_RSRC2:TIDIG_COMP_CNT: 2
	.section	.text._ZN4vllm3moe17topkGatingSoftmaxILi4ELi128ELi4ELi16ELi64EiEEvPKfPKbPfiPT4_Piiii,"axG",@progbits,_ZN4vllm3moe17topkGatingSoftmaxILi4ELi128ELi4ELi16ELi64EiEEvPKfPKbPfiPT4_Piiii,comdat
	.protected	_ZN4vllm3moe17topkGatingSoftmaxILi4ELi128ELi4ELi16ELi64EiEEvPKfPKbPfiPT4_Piiii ; -- Begin function _ZN4vllm3moe17topkGatingSoftmaxILi4ELi128ELi4ELi16ELi64EiEEvPKfPKbPfiPT4_Piiii
	.globl	_ZN4vllm3moe17topkGatingSoftmaxILi4ELi128ELi4ELi16ELi64EiEEvPKfPKbPfiPT4_Piiii
	.p2align	8
	.type	_ZN4vllm3moe17topkGatingSoftmaxILi4ELi128ELi4ELi16ELi64EiEEvPKfPKbPfiPT4_Piiii,@function
_ZN4vllm3moe17topkGatingSoftmaxILi4ELi128ELi4ELi16ELi64EiEEvPKfPKbPfiPT4_Piiii: ; @_ZN4vllm3moe17topkGatingSoftmaxILi4ELi128ELi4ELi16ELi64EiEEvPKfPKbPfiPT4_Piiii
; %bb.0:
	s_load_b32 s14, s[2:3], 0x18
	v_bfe_u32 v8, v0, 10, 10
	v_and_b32_e32 v9, 0x3ff, v0
	s_lshl_b32 s4, s15, 3
	s_delay_alu instid0(VALU_DEP_2) | instskip(NEXT) | instid1(VALU_DEP_2)
	v_lshlrev_b32_e32 v1, 1, v8
	v_lshrrev_b32_e32 v2, 5, v9
	s_delay_alu instid0(VALU_DEP_1) | instskip(SKIP_2) | instid1(VALU_DEP_1)
	v_add3_u32 v1, s4, v1, v2
	s_mov_b32 s4, exec_lo
	s_waitcnt lgkmcnt(0)
	v_cmpx_gt_i32_e64 s14, v1
	s_cbranch_execz .LBB14_30
; %bb.1:
	s_clause 0x1
	s_load_b128 s[4:7], s[2:3], 0x0
	s_load_b64 s[12:13], s[2:3], 0x10
	s_mov_b32 s15, -1
	s_waitcnt lgkmcnt(0)
	s_cmp_eq_u64 s[6:7], 0
	s_cbranch_scc1 .LBB14_3
; %bb.2:
	v_ashrrev_i32_e32 v3, 31, v1
	v_add_co_u32 v2, vcc_lo, s6, v1
	s_delay_alu instid0(VALU_DEP_2) | instskip(SKIP_3) | instid1(VALU_DEP_1)
	v_add_co_ci_u32_e32 v3, vcc_lo, s7, v3, vcc_lo
	global_load_u8 v2, v[2:3], off
	s_waitcnt vmcnt(0)
	v_and_b32_e32 v2, 1, v2
	v_cmp_eq_u32_e32 vcc_lo, 1, v2
	s_xor_b32 s6, vcc_lo, -1
	s_delay_alu instid0(SALU_CYCLE_1)
	s_or_not1_b32 s15, s6, exec_lo
.LBB14_3:
	v_lshlrev_b32_e32 v3, 7, v1
	v_and_b32_e32 v2, 31, v9
	v_mbcnt_lo_u32_b32 v7, -1, 0
	s_load_b64 s[0:1], s[0:1], 0x4
	v_bfe_u32 v0, v0, 20, 10
	v_ashrrev_i32_e32 v4, 31, v3
	v_lshlrev_b32_e32 v5, 4, v2
	v_xor_b32_e32 v6, 8, v7
	s_delay_alu instid0(VALU_DEP_3) | instskip(NEXT) | instid1(VALU_DEP_1)
	v_lshlrev_b64 v[3:4], 2, v[3:4]
	v_add_co_u32 v3, vcc_lo, s4, v3
	s_delay_alu instid0(VALU_DEP_2) | instskip(SKIP_1) | instid1(VALU_DEP_2)
	v_add_co_ci_u32_e32 v4, vcc_lo, s5, v4, vcc_lo
	s_load_b128 s[4:7], s[2:3], 0x30
	v_add_co_u32 v3, vcc_lo, v3, v5
	s_delay_alu instid0(VALU_DEP_2)
	v_add_co_ci_u32_e32 v4, vcc_lo, 0, v4, vcc_lo
	s_waitcnt lgkmcnt(0)
	s_lshr_b32 s0, s0, 16
	s_mov_b32 s7, 0
	s_mul_i32 s0, s0, s1
	global_load_b128 v[10:13], v[3:4], off
	v_xor_b32_e32 v3, 16, v7
	v_mul_lo_u32 v9, s0, v9
	s_delay_alu instid0(VALU_DEP_2) | instskip(NEXT) | instid1(VALU_DEP_2)
	v_cmp_gt_i32_e32 vcc_lo, 32, v3
	v_mad_u32_u24 v8, v8, s1, v9
	s_cmp_lt_i32 s4, 1
	s_delay_alu instid0(VALU_DEP_1) | instskip(SKIP_4) | instid1(VALU_DEP_2)
	v_add_lshl_u32 v0, v8, v0, 4
	s_waitcnt vmcnt(0)
	v_dual_max_f32 v4, v11, v11 :: v_dual_max_f32 v5, v10, v10
	v_cndmask_b32_e32 v3, v7, v3, vcc_lo
	v_cmp_gt_i32_e32 vcc_lo, 32, v6
	v_dual_max_f32 v4, v5, v4 :: v_dual_lshlrev_b32 v3, 2, v3
	v_cndmask_b32_e32 v6, v7, v6, vcc_lo
	s_delay_alu instid0(VALU_DEP_2) | instskip(SKIP_4) | instid1(VALU_DEP_2)
	v_max3_f32 v5, v4, v12, v13
	ds_bpermute_b32 v4, v3, v5
	s_waitcnt lgkmcnt(0)
	v_max_f32_e32 v14, v4, v4
	v_lshlrev_b32_e32 v4, 2, v6
	v_max_f32_e32 v6, v5, v14
	v_xor_b32_e32 v14, 4, v7
	ds_bpermute_b32 v5, v4, v6
	v_cmp_gt_i32_e32 vcc_lo, 32, v14
	s_waitcnt lgkmcnt(0)
	v_dual_cndmask_b32 v14, v7, v14 :: v_dual_max_f32 v15, v5, v5
	s_delay_alu instid0(VALU_DEP_1)
	v_dual_max_f32 v14, v6, v15 :: v_dual_lshlrev_b32 v5, 2, v14
	v_xor_b32_e32 v15, 2, v7
	ds_bpermute_b32 v6, v5, v14
	v_cmp_gt_i32_e32 vcc_lo, 32, v15
	s_waitcnt lgkmcnt(0)
	v_dual_cndmask_b32 v15, v7, v15 :: v_dual_max_f32 v16, v6, v6
	s_delay_alu instid0(VALU_DEP_1) | instskip(SKIP_1) | instid1(VALU_DEP_1)
	v_max_f32_e32 v14, v14, v16
	v_xor_b32_e32 v16, 1, v7
	v_cmp_gt_i32_e32 vcc_lo, 32, v16
	s_delay_alu instid0(VALU_DEP_4) | instskip(SKIP_4) | instid1(VALU_DEP_1)
	v_dual_cndmask_b32 v7, v7, v16 :: v_dual_lshlrev_b32 v6, 2, v15
	ds_bpermute_b32 v15, v6, v14
	v_lshlrev_b32_e32 v7, 2, v7
	s_waitcnt lgkmcnt(0)
	v_max_f32_e32 v15, v15, v15
	v_max_f32_e32 v14, v14, v15
	ds_bpermute_b32 v15, v7, v14
	s_waitcnt lgkmcnt(0)
	v_max_f32_e32 v15, v15, v15
	s_delay_alu instid0(VALU_DEP_1) | instskip(NEXT) | instid1(VALU_DEP_1)
	v_max_f32_e32 v14, v14, v15
	v_sub_f32_e32 v11, v11, v14
	s_delay_alu instid0(VALU_DEP_1) | instskip(NEXT) | instid1(VALU_DEP_1)
	v_mul_f32_e32 v15, 0x3fb8aa3b, v11
	v_rndne_f32_e32 v21, v15
	v_fma_f32 v20, 0x3fb8aa3b, v11, -v15
	s_delay_alu instid0(VALU_DEP_2) | instskip(SKIP_1) | instid1(VALU_DEP_1)
	v_sub_f32_e32 v15, v15, v21
	v_sub_f32_e32 v13, v13, v14
	v_dual_sub_f32 v12, v12, v14 :: v_dual_mul_f32 v17, 0x3fb8aa3b, v13
	s_delay_alu instid0(VALU_DEP_1) | instskip(SKIP_1) | instid1(VALU_DEP_3)
	v_mul_f32_e32 v16, 0x3fb8aa3b, v12
	v_fmac_f32_e32 v20, 0x32a5705f, v11
	v_rndne_f32_e32 v25, v17
	v_sub_f32_e32 v10, v10, v14
	v_fma_f32 v24, 0x3fb8aa3b, v13, -v17
	s_delay_alu instid0(VALU_DEP_4) | instskip(SKIP_1) | instid1(VALU_DEP_4)
	v_add_f32_e32 v15, v15, v20
	v_fma_f32 v22, 0x3fb8aa3b, v12, -v16
	v_dual_sub_f32 v17, v17, v25 :: v_dual_mul_f32 v14, 0x3fb8aa3b, v10
	v_rndne_f32_e32 v23, v16
	s_delay_alu instid0(VALU_DEP_4)
	v_exp_f32_e32 v15, v15
	v_cmp_ngt_f32_e32 vcc_lo, 0xc2ce8ed0, v10
	v_fmac_f32_e32 v22, 0x32a5705f, v12
	v_fma_f32 v18, 0x3fb8aa3b, v10, -v14
	v_rndne_f32_e32 v19, v14
	v_sub_f32_e32 v16, v16, v23
	v_cvt_i32_f32_e32 v20, v23
	s_delay_alu instid0(VALU_DEP_4) | instskip(NEXT) | instid1(VALU_DEP_4)
	v_fmac_f32_e32 v18, 0x32a5705f, v10
	v_sub_f32_e32 v14, v14, v19
	v_fmac_f32_e32 v24, 0x32a5705f, v13
	s_delay_alu instid0(VALU_DEP_2) | instskip(SKIP_2) | instid1(VALU_DEP_4)
	v_add_f32_e32 v14, v14, v18
	v_cvt_i32_f32_e32 v18, v19
	v_cvt_i32_f32_e32 v19, v21
	v_add_f32_e32 v17, v17, v24
	v_cvt_i32_f32_e32 v21, v25
	v_exp_f32_e32 v14, v14
	s_delay_alu instid0(VALU_DEP_3) | instskip(NEXT) | instid1(VALU_DEP_3)
	v_ldexp_f32 v15, v15, v19
	v_exp_f32_e32 v17, v17
	s_waitcnt_depctr 0xfff
	v_ldexp_f32 v14, v14, v18
	v_ldexp_f32 v17, v17, v21
	s_delay_alu instid0(VALU_DEP_2) | instskip(SKIP_3) | instid1(VALU_DEP_2)
	v_cndmask_b32_e32 v14, 0, v14, vcc_lo
	v_cmp_ngt_f32_e32 vcc_lo, 0xc2ce8ed0, v11
	v_dual_cndmask_b32 v15, 0, v15 :: v_dual_add_f32 v16, v16, v22
	v_cmp_ngt_f32_e32 vcc_lo, 0xc2ce8ed0, v12
	v_exp_f32_e32 v16, v16
	s_waitcnt_depctr 0xfff
	v_ldexp_f32 v16, v16, v20
	s_delay_alu instid0(VALU_DEP_1)
	v_cndmask_b32_e32 v16, 0, v16, vcc_lo
	v_cmp_nlt_f32_e32 vcc_lo, 0x42b17218, v10
	v_cndmask_b32_e32 v10, 0x7f800000, v14, vcc_lo
	v_cmp_nlt_f32_e32 vcc_lo, 0x42b17218, v11
	v_cndmask_b32_e32 v11, 0x7f800000, v15, vcc_lo
	v_cmp_ngt_f32_e32 vcc_lo, 0xc2ce8ed0, v13
	s_delay_alu instid0(VALU_DEP_2) | instskip(SKIP_3) | instid1(VALU_DEP_2)
	v_dual_add_f32 v15, v10, v11 :: v_dual_cndmask_b32 v14, 0, v17
	v_cmp_nlt_f32_e32 vcc_lo, 0x42b17218, v12
	v_cndmask_b32_e32 v12, 0x7f800000, v16, vcc_lo
	v_cmp_nlt_f32_e32 vcc_lo, 0x42b17218, v13
	v_dual_cndmask_b32 v13, 0x7f800000, v14 :: v_dual_add_f32 v14, v15, v12
	s_delay_alu instid0(VALU_DEP_1)
	v_add_f32_e32 v14, v14, v13
	ds_bpermute_b32 v15, v3, v14
	s_waitcnt lgkmcnt(0)
	v_add_f32_e32 v14, v14, v15
	ds_bpermute_b32 v15, v4, v14
	s_waitcnt lgkmcnt(0)
	v_add_f32_e32 v14, v14, v15
	ds_bpermute_b32 v15, v5, v14
	s_waitcnt lgkmcnt(0)
	v_add_f32_e32 v14, v14, v15
	ds_bpermute_b32 v15, v6, v14
	s_waitcnt lgkmcnt(0)
	v_add_f32_e32 v14, v14, v15
	ds_bpermute_b32 v15, v7, v14
	s_waitcnt lgkmcnt(0)
	v_add_f32_e32 v14, v14, v15
	s_delay_alu instid0(VALU_DEP_1) | instskip(SKIP_1) | instid1(VALU_DEP_2)
	v_div_scale_f32 v15, null, v14, v14, 1.0
	v_div_scale_f32 v18, vcc_lo, 1.0, v14, 1.0
	v_rcp_f32_e32 v16, v15
	s_waitcnt_depctr 0xfff
	v_fma_f32 v17, -v15, v16, 1.0
	s_delay_alu instid0(VALU_DEP_1) | instskip(NEXT) | instid1(VALU_DEP_1)
	v_fmac_f32_e32 v16, v17, v16
	v_mul_f32_e32 v17, v18, v16
	s_delay_alu instid0(VALU_DEP_1) | instskip(NEXT) | instid1(VALU_DEP_1)
	v_fma_f32 v19, -v15, v17, v18
	v_fmac_f32_e32 v17, v19, v16
	s_delay_alu instid0(VALU_DEP_1) | instskip(NEXT) | instid1(VALU_DEP_1)
	v_fma_f32 v15, -v15, v17, v18
	v_div_fmas_f32 v15, v15, v16, v17
	s_delay_alu instid0(VALU_DEP_1) | instskip(NEXT) | instid1(VALU_DEP_1)
	v_div_fixup_f32 v14, v15, v14, 1.0
	v_mul_f32_e32 v9, v14, v11
	v_mul_f32_e32 v11, v14, v13
	;; [unrolled: 1-line block ×4, first 2 shown]
	ds_store_b128 v0, v[8:11]
	s_cbranch_scc1 .LBB14_30
; %bb.4:
	s_load_b128 s[8:11], s[2:3], 0x20
	v_mul_lo_u32 v8, v1, s4
	v_dual_mov_b32 v10, 0xc61c4000 :: v_dual_lshlrev_b32 v9, 2, v2
	v_cmp_eq_u32_e32 vcc_lo, 0, v2
	s_branch .LBB14_6
.LBB14_5:                               ;   in Loop: Header=BB14_6 Depth=1
	s_or_b32 exec_lo, exec_lo, s0
	v_add_nc_u32_e32 v1, s14, v1
	s_cmp_lg_u32 s4, s7
	s_cbranch_scc0 .LBB14_30
.LBB14_6:                               ; =>This Inner Loop Header: Depth=1
	ds_load_b128 v[11:14], v0
	s_mov_b32 s3, exec_lo
	s_waitcnt lgkmcnt(0)
	v_cmp_gt_f32_e64 s0, v12, v11
	s_delay_alu instid0(VALU_DEP_1) | instskip(SKIP_1) | instid1(VALU_DEP_2)
	v_cndmask_b32_e64 v11, v11, v12, s0
	v_cndmask_b32_e64 v12, 0, 1, s0
	v_cmp_gt_f32_e64 s0, v13, v11
	s_delay_alu instid0(VALU_DEP_1) | instskip(NEXT) | instid1(VALU_DEP_3)
	v_cndmask_b32_e64 v11, v11, v13, s0
	v_cndmask_b32_e64 v13, v12, 2, s0
	s_delay_alu instid0(VALU_DEP_2) | instskip(NEXT) | instid1(VALU_DEP_1)
	v_cmp_gt_f32_e64 s0, v14, v11
	v_cndmask_b32_e64 v12, v11, v14, s0
	s_delay_alu instid0(VALU_DEP_3)
	v_cndmask_b32_e64 v11, v13, 3, s0
	ds_bpermute_b32 v13, v3, v12
	v_or_b32_e32 v11, v9, v11
	ds_bpermute_b32 v14, v3, v11
	s_waitcnt lgkmcnt(1)
	v_cmp_lt_f32_e64 s2, v12, v13
	v_cmpx_nlt_f32_e32 v12, v13
	s_cbranch_execz .LBB14_8
; %bb.7:                                ;   in Loop: Header=BB14_6 Depth=1
	v_cmp_eq_f32_e64 s0, v12, v13
	s_waitcnt lgkmcnt(0)
	v_cmp_lt_i32_e64 s1, v14, v11
	s_delay_alu instid0(VALU_DEP_1) | instskip(SKIP_2) | instid1(SALU_CYCLE_1)
	s_and_b32 s0, s0, s1
	s_and_not1_b32 s1, s2, exec_lo
	s_and_b32 s0, s0, exec_lo
	s_or_b32 s2, s1, s0
.LBB14_8:                               ;   in Loop: Header=BB14_6 Depth=1
	s_or_b32 exec_lo, exec_lo, s3
	s_delay_alu instid0(VALU_DEP_2)
	s_and_saveexec_b32 s0, s2
	s_cbranch_execz .LBB14_10
; %bb.9:                                ;   in Loop: Header=BB14_6 Depth=1
	s_waitcnt lgkmcnt(0)
	v_dual_mov_b32 v12, v13 :: v_dual_mov_b32 v11, v14
.LBB14_10:                              ;   in Loop: Header=BB14_6 Depth=1
	s_or_b32 exec_lo, exec_lo, s0
	s_waitcnt lgkmcnt(0)
	ds_bpermute_b32 v14, v4, v12
	ds_bpermute_b32 v13, v4, v11
	s_mov_b32 s3, exec_lo
	s_waitcnt lgkmcnt(1)
	v_cmp_lt_f32_e64 s2, v12, v14
	v_cmpx_nlt_f32_e32 v12, v14
	s_cbranch_execz .LBB14_12
; %bb.11:                               ;   in Loop: Header=BB14_6 Depth=1
	v_cmp_eq_f32_e64 s0, v12, v14
	s_waitcnt lgkmcnt(0)
	v_cmp_lt_i32_e64 s1, v13, v11
	s_delay_alu instid0(VALU_DEP_1) | instskip(SKIP_2) | instid1(SALU_CYCLE_1)
	s_and_b32 s0, s0, s1
	s_and_not1_b32 s1, s2, exec_lo
	s_and_b32 s0, s0, exec_lo
	s_or_b32 s2, s1, s0
.LBB14_12:                              ;   in Loop: Header=BB14_6 Depth=1
	s_or_b32 exec_lo, exec_lo, s3
	s_delay_alu instid0(VALU_DEP_2)
	s_and_saveexec_b32 s0, s2
	s_cbranch_execz .LBB14_14
; %bb.13:                               ;   in Loop: Header=BB14_6 Depth=1
	s_waitcnt lgkmcnt(0)
	v_dual_mov_b32 v12, v14 :: v_dual_mov_b32 v11, v13
.LBB14_14:                              ;   in Loop: Header=BB14_6 Depth=1
	s_or_b32 exec_lo, exec_lo, s0
	ds_bpermute_b32 v14, v5, v12
	s_waitcnt lgkmcnt(1)
	ds_bpermute_b32 v13, v5, v11
	s_mov_b32 s3, exec_lo
	s_waitcnt lgkmcnt(1)
	v_cmp_lt_f32_e64 s2, v12, v14
	v_cmpx_nlt_f32_e32 v12, v14
	s_cbranch_execz .LBB14_16
; %bb.15:                               ;   in Loop: Header=BB14_6 Depth=1
	v_cmp_eq_f32_e64 s0, v12, v14
	s_waitcnt lgkmcnt(0)
	v_cmp_lt_i32_e64 s1, v13, v11
	s_delay_alu instid0(VALU_DEP_1) | instskip(SKIP_2) | instid1(SALU_CYCLE_1)
	s_and_b32 s0, s0, s1
	s_and_not1_b32 s1, s2, exec_lo
	s_and_b32 s0, s0, exec_lo
	s_or_b32 s2, s1, s0
.LBB14_16:                              ;   in Loop: Header=BB14_6 Depth=1
	s_or_b32 exec_lo, exec_lo, s3
	s_delay_alu instid0(VALU_DEP_2)
	s_and_saveexec_b32 s0, s2
	s_cbranch_execz .LBB14_18
; %bb.17:                               ;   in Loop: Header=BB14_6 Depth=1
	s_waitcnt lgkmcnt(0)
	v_dual_mov_b32 v12, v14 :: v_dual_mov_b32 v11, v13
.LBB14_18:                              ;   in Loop: Header=BB14_6 Depth=1
	s_or_b32 exec_lo, exec_lo, s0
	ds_bpermute_b32 v14, v6, v12
	s_waitcnt lgkmcnt(1)
	ds_bpermute_b32 v13, v6, v11
	s_mov_b32 s3, exec_lo
	s_waitcnt lgkmcnt(1)
	v_cmp_lt_f32_e64 s2, v12, v14
	v_cmpx_nlt_f32_e32 v12, v14
	s_cbranch_execz .LBB14_20
; %bb.19:                               ;   in Loop: Header=BB14_6 Depth=1
	v_cmp_eq_f32_e64 s0, v12, v14
	s_waitcnt lgkmcnt(0)
	v_cmp_lt_i32_e64 s1, v13, v11
	s_delay_alu instid0(VALU_DEP_1) | instskip(SKIP_2) | instid1(SALU_CYCLE_1)
	s_and_b32 s0, s0, s1
	s_and_not1_b32 s1, s2, exec_lo
	s_and_b32 s0, s0, exec_lo
	s_or_b32 s2, s1, s0
.LBB14_20:                              ;   in Loop: Header=BB14_6 Depth=1
	s_or_b32 exec_lo, exec_lo, s3
	s_delay_alu instid0(VALU_DEP_2)
	s_and_saveexec_b32 s0, s2
	s_cbranch_execz .LBB14_22
; %bb.21:                               ;   in Loop: Header=BB14_6 Depth=1
	s_waitcnt lgkmcnt(0)
	v_dual_mov_b32 v12, v14 :: v_dual_mov_b32 v11, v13
.LBB14_22:                              ;   in Loop: Header=BB14_6 Depth=1
	s_or_b32 exec_lo, exec_lo, s0
	s_waitcnt lgkmcnt(0)
	ds_bpermute_b32 v13, v7, v12
	ds_bpermute_b32 v14, v7, v11
	s_mov_b32 s3, exec_lo
	s_waitcnt lgkmcnt(1)
	v_cmp_lt_f32_e64 s2, v12, v13
	v_cmpx_nlt_f32_e32 v12, v13
	s_cbranch_execnz .LBB14_28
; %bb.23:                               ;   in Loop: Header=BB14_6 Depth=1
	s_or_b32 exec_lo, exec_lo, s3
	s_delay_alu instid0(VALU_DEP_2)
	s_and_saveexec_b32 s0, s2
	s_cbranch_execnz .LBB14_29
.LBB14_24:                              ;   in Loop: Header=BB14_6 Depth=1
	s_or_b32 exec_lo, exec_lo, s0
	s_and_saveexec_b32 s2, vcc_lo
	s_cbranch_execz .LBB14_26
.LBB14_25:                              ;   in Loop: Header=BB14_6 Depth=1
	v_add_nc_u32_e32 v13, s7, v8
	v_cmp_le_i32_e64 s0, s5, v11
	v_cmp_gt_i32_e64 s1, s6, v11
	v_subrev_nc_u32_e32 v15, s5, v11
	s_waitcnt lgkmcnt(0)
	v_ashrrev_i32_e32 v14, 31, v13
	s_delay_alu instid0(VALU_DEP_3) | instskip(NEXT) | instid1(SALU_CYCLE_1)
	s_and_b32 s0, s0, s1
	s_and_b32 s0, s15, s0
	s_delay_alu instid0(VALU_DEP_1) | instskip(SKIP_1) | instid1(VALU_DEP_2)
	v_lshlrev_b64 v[13:14], 2, v[13:14]
	v_cndmask_b32_e64 v19, 0x80, v15, s0
	v_add_co_u32 v15, s0, s12, v13
	s_delay_alu instid0(VALU_DEP_1) | instskip(SKIP_1) | instid1(VALU_DEP_1)
	v_add_co_ci_u32_e64 v16, s0, s13, v14, s0
	v_add_co_u32 v17, s0, s8, v13
	v_add_co_ci_u32_e64 v18, s0, s9, v14, s0
	v_add_co_u32 v13, s0, s10, v13
	s_delay_alu instid0(VALU_DEP_1)
	v_add_co_ci_u32_e64 v14, s0, s11, v14, s0
	global_store_b32 v[15:16], v12, off
	global_store_b32 v[17:18], v19, off
	;; [unrolled: 1-line block ×3, first 2 shown]
.LBB14_26:                              ;   in Loop: Header=BB14_6 Depth=1
	s_or_b32 exec_lo, exec_lo, s2
	v_ashrrev_i32_e32 v12, 31, v11
	s_add_i32 s7, s7, 1
	s_delay_alu instid0(SALU_CYCLE_1) | instskip(SKIP_1) | instid1(VALU_DEP_1)
	s_cmp_lt_i32 s7, s4
	s_cselect_b32 s1, -1, 0
	v_lshrrev_b32_e32 v13, 30, v12
	s_delay_alu instid0(VALU_DEP_1) | instskip(SKIP_1) | instid1(VALU_DEP_1)
	v_add_nc_u32_e32 v13, v11, v13
	s_waitcnt lgkmcnt(0)
	v_ashrrev_i32_e32 v14, 31, v13
	v_ashrrev_i32_e32 v13, 2, v13
	s_delay_alu instid0(VALU_DEP_2) | instskip(NEXT) | instid1(VALU_DEP_1)
	v_lshrrev_b32_e32 v14, 27, v14
	v_add_nc_u32_e32 v14, v13, v14
	s_delay_alu instid0(VALU_DEP_1) | instskip(NEXT) | instid1(VALU_DEP_1)
	v_and_b32_e32 v14, 0xffffffe0, v14
	v_sub_nc_u32_e32 v14, v13, v14
	s_delay_alu instid0(VALU_DEP_1) | instskip(NEXT) | instid1(VALU_DEP_1)
	v_cmp_eq_u32_e64 s0, v2, v14
	s_and_b32 s1, s1, s0
	s_delay_alu instid0(SALU_CYCLE_1)
	s_and_saveexec_b32 s0, s1
	s_cbranch_execz .LBB14_5
; %bb.27:                               ;   in Loop: Header=BB14_6 Depth=1
	v_lshrrev_b32_e32 v12, 25, v12
	v_lshlrev_b32_e32 v13, 2, v13
	s_delay_alu instid0(VALU_DEP_2) | instskip(NEXT) | instid1(VALU_DEP_2)
	v_add_nc_u32_e32 v12, v11, v12
	v_sub_nc_u32_e32 v11, v11, v13
	s_delay_alu instid0(VALU_DEP_2) | instskip(NEXT) | instid1(VALU_DEP_1)
	v_ashrrev_i32_e32 v12, 7, v12
	v_lshl_add_u32 v11, v12, 2, v11
	s_delay_alu instid0(VALU_DEP_1)
	v_lshl_add_u32 v11, v11, 2, v0
	ds_store_b32 v11, v10
	s_branch .LBB14_5
.LBB14_28:                              ;   in Loop: Header=BB14_6 Depth=1
	v_cmp_eq_f32_e64 s0, v12, v13
	s_waitcnt lgkmcnt(0)
	v_cmp_lt_i32_e64 s1, v14, v11
	s_delay_alu instid0(VALU_DEP_1) | instskip(SKIP_2) | instid1(SALU_CYCLE_1)
	s_and_b32 s0, s0, s1
	s_and_not1_b32 s1, s2, exec_lo
	s_and_b32 s0, s0, exec_lo
	s_or_b32 s2, s1, s0
	s_or_b32 exec_lo, exec_lo, s3
	s_and_saveexec_b32 s0, s2
	s_cbranch_execz .LBB14_24
.LBB14_29:                              ;   in Loop: Header=BB14_6 Depth=1
	s_waitcnt lgkmcnt(0)
	v_dual_mov_b32 v12, v13 :: v_dual_mov_b32 v11, v14
	s_or_b32 exec_lo, exec_lo, s0
	s_and_saveexec_b32 s2, vcc_lo
	s_cbranch_execnz .LBB14_25
	s_branch .LBB14_26
.LBB14_30:
	s_nop 0
	s_sendmsg sendmsg(MSG_DEALLOC_VGPRS)
	s_endpgm
	.section	.rodata,"a",@progbits
	.p2align	6, 0x0
	.amdhsa_kernel _ZN4vllm3moe17topkGatingSoftmaxILi4ELi128ELi4ELi16ELi64EiEEvPKfPKbPfiPT4_Piiii
		.amdhsa_group_segment_fixed_size 4096
		.amdhsa_private_segment_fixed_size 0
		.amdhsa_kernarg_size 60
		.amdhsa_user_sgpr_count 15
		.amdhsa_user_sgpr_dispatch_ptr 1
		.amdhsa_user_sgpr_queue_ptr 0
		.amdhsa_user_sgpr_kernarg_segment_ptr 1
		.amdhsa_user_sgpr_dispatch_id 0
		.amdhsa_user_sgpr_private_segment_size 0
		.amdhsa_wavefront_size32 1
		.amdhsa_uses_dynamic_stack 0
		.amdhsa_enable_private_segment 0
		.amdhsa_system_sgpr_workgroup_id_x 1
		.amdhsa_system_sgpr_workgroup_id_y 0
		.amdhsa_system_sgpr_workgroup_id_z 0
		.amdhsa_system_sgpr_workgroup_info 0
		.amdhsa_system_vgpr_workitem_id 2
		.amdhsa_next_free_vgpr 26
		.amdhsa_next_free_sgpr 16
		.amdhsa_reserve_vcc 1
		.amdhsa_float_round_mode_32 0
		.amdhsa_float_round_mode_16_64 0
		.amdhsa_float_denorm_mode_32 3
		.amdhsa_float_denorm_mode_16_64 3
		.amdhsa_dx10_clamp 1
		.amdhsa_ieee_mode 1
		.amdhsa_fp16_overflow 0
		.amdhsa_workgroup_processor_mode 1
		.amdhsa_memory_ordered 1
		.amdhsa_forward_progress 0
		.amdhsa_shared_vgpr_count 0
		.amdhsa_exception_fp_ieee_invalid_op 0
		.amdhsa_exception_fp_denorm_src 0
		.amdhsa_exception_fp_ieee_div_zero 0
		.amdhsa_exception_fp_ieee_overflow 0
		.amdhsa_exception_fp_ieee_underflow 0
		.amdhsa_exception_fp_ieee_inexact 0
		.amdhsa_exception_int_div_zero 0
	.end_amdhsa_kernel
	.section	.text._ZN4vllm3moe17topkGatingSoftmaxILi4ELi128ELi4ELi16ELi64EiEEvPKfPKbPfiPT4_Piiii,"axG",@progbits,_ZN4vllm3moe17topkGatingSoftmaxILi4ELi128ELi4ELi16ELi64EiEEvPKfPKbPfiPT4_Piiii,comdat
.Lfunc_end14:
	.size	_ZN4vllm3moe17topkGatingSoftmaxILi4ELi128ELi4ELi16ELi64EiEEvPKfPKbPfiPT4_Piiii, .Lfunc_end14-_ZN4vllm3moe17topkGatingSoftmaxILi4ELi128ELi4ELi16ELi64EiEEvPKfPKbPfiPT4_Piiii
                                        ; -- End function
	.section	.AMDGPU.csdata,"",@progbits
; Kernel info:
; codeLenInByte = 2252
; NumSgprs: 18
; NumVgprs: 26
; ScratchSize: 0
; MemoryBound: 0
; FloatMode: 240
; IeeeMode: 1
; LDSByteSize: 4096 bytes/workgroup (compile time only)
; SGPRBlocks: 2
; VGPRBlocks: 3
; NumSGPRsForWavesPerEU: 18
; NumVGPRsForWavesPerEU: 26
; Occupancy: 16
; WaveLimiterHint : 0
; COMPUTE_PGM_RSRC2:SCRATCH_EN: 0
; COMPUTE_PGM_RSRC2:USER_SGPR: 15
; COMPUTE_PGM_RSRC2:TRAP_HANDLER: 0
; COMPUTE_PGM_RSRC2:TGID_X_EN: 1
; COMPUTE_PGM_RSRC2:TGID_Y_EN: 0
; COMPUTE_PGM_RSRC2:TGID_Z_EN: 0
; COMPUTE_PGM_RSRC2:TIDIG_COMP_CNT: 2
	.section	.text._ZN4vllm3moe17topkGatingSoftmaxILi4ELi128ELi4ELi16ELi32EiEEvPKfPKbPfiPT4_Piiii,"axG",@progbits,_ZN4vllm3moe17topkGatingSoftmaxILi4ELi128ELi4ELi16ELi32EiEEvPKfPKbPfiPT4_Piiii,comdat
	.protected	_ZN4vllm3moe17topkGatingSoftmaxILi4ELi128ELi4ELi16ELi32EiEEvPKfPKbPfiPT4_Piiii ; -- Begin function _ZN4vllm3moe17topkGatingSoftmaxILi4ELi128ELi4ELi16ELi32EiEEvPKfPKbPfiPT4_Piiii
	.globl	_ZN4vllm3moe17topkGatingSoftmaxILi4ELi128ELi4ELi16ELi32EiEEvPKfPKbPfiPT4_Piiii
	.p2align	8
	.type	_ZN4vllm3moe17topkGatingSoftmaxILi4ELi128ELi4ELi16ELi32EiEEvPKfPKbPfiPT4_Piiii,@function
_ZN4vllm3moe17topkGatingSoftmaxILi4ELi128ELi4ELi16ELi32EiEEvPKfPKbPfiPT4_Piiii: ; @_ZN4vllm3moe17topkGatingSoftmaxILi4ELi128ELi4ELi16ELi32EiEEvPKfPKbPfiPT4_Piiii
; %bb.0:
	s_load_b32 s14, s[2:3], 0x18
	v_and_b32_e32 v8, 0x3ff, v0
	v_bfe_u32 v9, v0, 10, 10
	s_lshl_b32 s4, s15, 2
	s_delay_alu instid0(VALU_DEP_2) | instskip(NEXT) | instid1(VALU_DEP_1)
	v_lshrrev_b32_e32 v1, 5, v8
	v_add3_u32 v1, s4, v9, v1
	s_mov_b32 s4, exec_lo
	s_waitcnt lgkmcnt(0)
	s_delay_alu instid0(VALU_DEP_1)
	v_cmpx_gt_i32_e64 s14, v1
	s_cbranch_execz .LBB15_30
; %bb.1:
	s_clause 0x1
	s_load_b128 s[4:7], s[2:3], 0x0
	s_load_b64 s[12:13], s[2:3], 0x10
	s_mov_b32 s15, -1
	s_waitcnt lgkmcnt(0)
	s_cmp_eq_u64 s[6:7], 0
	s_cbranch_scc1 .LBB15_3
; %bb.2:
	v_ashrrev_i32_e32 v3, 31, v1
	v_add_co_u32 v2, vcc_lo, s6, v1
	s_delay_alu instid0(VALU_DEP_2) | instskip(SKIP_3) | instid1(VALU_DEP_1)
	v_add_co_ci_u32_e32 v3, vcc_lo, s7, v3, vcc_lo
	global_load_u8 v2, v[2:3], off
	s_waitcnt vmcnt(0)
	v_and_b32_e32 v2, 1, v2
	v_cmp_eq_u32_e32 vcc_lo, 1, v2
	s_xor_b32 s6, vcc_lo, -1
	s_delay_alu instid0(SALU_CYCLE_1)
	s_or_not1_b32 s15, s6, exec_lo
.LBB15_3:
	v_lshlrev_b32_e32 v3, 7, v1
	v_and_b32_e32 v2, 31, v8
	v_mbcnt_lo_u32_b32 v7, -1, 0
	s_load_b64 s[0:1], s[0:1], 0x4
	v_bfe_u32 v0, v0, 20, 10
	v_ashrrev_i32_e32 v4, 31, v3
	v_lshlrev_b32_e32 v5, 4, v2
	v_xor_b32_e32 v6, 8, v7
	s_delay_alu instid0(VALU_DEP_3) | instskip(NEXT) | instid1(VALU_DEP_1)
	v_lshlrev_b64 v[3:4], 2, v[3:4]
	v_add_co_u32 v3, vcc_lo, s4, v3
	s_delay_alu instid0(VALU_DEP_2) | instskip(SKIP_1) | instid1(VALU_DEP_2)
	v_add_co_ci_u32_e32 v4, vcc_lo, s5, v4, vcc_lo
	s_load_b128 s[4:7], s[2:3], 0x30
	v_add_co_u32 v3, vcc_lo, v3, v5
	s_delay_alu instid0(VALU_DEP_2)
	v_add_co_ci_u32_e32 v4, vcc_lo, 0, v4, vcc_lo
	s_waitcnt lgkmcnt(0)
	v_mul_u32_u24_e32 v9, s1, v9
	s_lshr_b32 s0, s0, 16
	s_mov_b32 s7, 0
	global_load_b128 v[10:13], v[3:4], off
	v_xor_b32_e32 v3, 16, v7
	s_mul_i32 s0, s0, s1
	s_delay_alu instid0(SALU_CYCLE_1) | instskip(NEXT) | instid1(VALU_DEP_2)
	v_mad_u32_u24 v8, s0, v8, v9
	v_cmp_gt_i32_e32 vcc_lo, 32, v3
	s_delay_alu instid0(VALU_DEP_2)
	v_add_lshl_u32 v0, v8, v0, 4
	s_cmp_lt_i32 s4, 1
	s_waitcnt vmcnt(0)
	v_dual_max_f32 v4, v11, v11 :: v_dual_max_f32 v5, v10, v10
	v_cndmask_b32_e32 v3, v7, v3, vcc_lo
	v_cmp_gt_i32_e32 vcc_lo, 32, v6
	s_delay_alu instid0(VALU_DEP_2) | instskip(SKIP_1) | instid1(VALU_DEP_2)
	v_dual_max_f32 v4, v5, v4 :: v_dual_lshlrev_b32 v3, 2, v3
	v_cndmask_b32_e32 v6, v7, v6, vcc_lo
	v_max3_f32 v5, v4, v12, v13
	ds_bpermute_b32 v4, v3, v5
	s_waitcnt lgkmcnt(0)
	v_max_f32_e32 v14, v4, v4
	v_lshlrev_b32_e32 v4, 2, v6
	s_delay_alu instid0(VALU_DEP_2)
	v_max_f32_e32 v6, v5, v14
	v_xor_b32_e32 v14, 4, v7
	ds_bpermute_b32 v5, v4, v6
	v_cmp_gt_i32_e32 vcc_lo, 32, v14
	s_waitcnt lgkmcnt(0)
	v_dual_cndmask_b32 v14, v7, v14 :: v_dual_max_f32 v15, v5, v5
	s_delay_alu instid0(VALU_DEP_1)
	v_dual_max_f32 v14, v6, v15 :: v_dual_lshlrev_b32 v5, 2, v14
	v_xor_b32_e32 v15, 2, v7
	ds_bpermute_b32 v6, v5, v14
	v_cmp_gt_i32_e32 vcc_lo, 32, v15
	s_waitcnt lgkmcnt(0)
	v_dual_cndmask_b32 v15, v7, v15 :: v_dual_max_f32 v16, v6, v6
	s_delay_alu instid0(VALU_DEP_1) | instskip(SKIP_1) | instid1(VALU_DEP_1)
	v_max_f32_e32 v14, v14, v16
	v_xor_b32_e32 v16, 1, v7
	v_cmp_gt_i32_e32 vcc_lo, 32, v16
	s_delay_alu instid0(VALU_DEP_4) | instskip(SKIP_4) | instid1(VALU_DEP_1)
	v_dual_cndmask_b32 v7, v7, v16 :: v_dual_lshlrev_b32 v6, 2, v15
	ds_bpermute_b32 v15, v6, v14
	v_lshlrev_b32_e32 v7, 2, v7
	s_waitcnt lgkmcnt(0)
	v_max_f32_e32 v15, v15, v15
	v_max_f32_e32 v14, v14, v15
	ds_bpermute_b32 v15, v7, v14
	s_waitcnt lgkmcnt(0)
	v_max_f32_e32 v15, v15, v15
	s_delay_alu instid0(VALU_DEP_1) | instskip(NEXT) | instid1(VALU_DEP_1)
	v_max_f32_e32 v14, v14, v15
	v_sub_f32_e32 v11, v11, v14
	s_delay_alu instid0(VALU_DEP_1) | instskip(NEXT) | instid1(VALU_DEP_1)
	v_mul_f32_e32 v15, 0x3fb8aa3b, v11
	v_rndne_f32_e32 v21, v15
	v_fma_f32 v20, 0x3fb8aa3b, v11, -v15
	s_delay_alu instid0(VALU_DEP_2) | instskip(SKIP_1) | instid1(VALU_DEP_1)
	v_sub_f32_e32 v15, v15, v21
	v_sub_f32_e32 v13, v13, v14
	v_dual_sub_f32 v12, v12, v14 :: v_dual_mul_f32 v17, 0x3fb8aa3b, v13
	s_delay_alu instid0(VALU_DEP_1) | instskip(SKIP_1) | instid1(VALU_DEP_3)
	v_mul_f32_e32 v16, 0x3fb8aa3b, v12
	v_fmac_f32_e32 v20, 0x32a5705f, v11
	v_rndne_f32_e32 v25, v17
	v_sub_f32_e32 v10, v10, v14
	v_fma_f32 v24, 0x3fb8aa3b, v13, -v17
	s_delay_alu instid0(VALU_DEP_4) | instskip(SKIP_1) | instid1(VALU_DEP_4)
	v_add_f32_e32 v15, v15, v20
	v_fma_f32 v22, 0x3fb8aa3b, v12, -v16
	v_dual_sub_f32 v17, v17, v25 :: v_dual_mul_f32 v14, 0x3fb8aa3b, v10
	v_rndne_f32_e32 v23, v16
	s_delay_alu instid0(VALU_DEP_4)
	v_exp_f32_e32 v15, v15
	v_cmp_ngt_f32_e32 vcc_lo, 0xc2ce8ed0, v10
	v_fmac_f32_e32 v22, 0x32a5705f, v12
	v_fma_f32 v18, 0x3fb8aa3b, v10, -v14
	v_rndne_f32_e32 v19, v14
	v_sub_f32_e32 v16, v16, v23
	v_cvt_i32_f32_e32 v20, v23
	s_delay_alu instid0(VALU_DEP_4) | instskip(NEXT) | instid1(VALU_DEP_4)
	v_fmac_f32_e32 v18, 0x32a5705f, v10
	v_sub_f32_e32 v14, v14, v19
	v_fmac_f32_e32 v24, 0x32a5705f, v13
	s_delay_alu instid0(VALU_DEP_2) | instskip(SKIP_2) | instid1(VALU_DEP_4)
	v_add_f32_e32 v14, v14, v18
	v_cvt_i32_f32_e32 v18, v19
	v_cvt_i32_f32_e32 v19, v21
	v_add_f32_e32 v17, v17, v24
	v_cvt_i32_f32_e32 v21, v25
	v_exp_f32_e32 v14, v14
	s_delay_alu instid0(VALU_DEP_3) | instskip(NEXT) | instid1(VALU_DEP_3)
	v_ldexp_f32 v15, v15, v19
	v_exp_f32_e32 v17, v17
	s_waitcnt_depctr 0xfff
	v_ldexp_f32 v14, v14, v18
	v_ldexp_f32 v17, v17, v21
	s_delay_alu instid0(VALU_DEP_2) | instskip(SKIP_3) | instid1(VALU_DEP_2)
	v_cndmask_b32_e32 v14, 0, v14, vcc_lo
	v_cmp_ngt_f32_e32 vcc_lo, 0xc2ce8ed0, v11
	v_dual_cndmask_b32 v15, 0, v15 :: v_dual_add_f32 v16, v16, v22
	v_cmp_ngt_f32_e32 vcc_lo, 0xc2ce8ed0, v12
	v_exp_f32_e32 v16, v16
	s_waitcnt_depctr 0xfff
	v_ldexp_f32 v16, v16, v20
	s_delay_alu instid0(VALU_DEP_1)
	v_cndmask_b32_e32 v16, 0, v16, vcc_lo
	v_cmp_nlt_f32_e32 vcc_lo, 0x42b17218, v10
	v_cndmask_b32_e32 v10, 0x7f800000, v14, vcc_lo
	v_cmp_nlt_f32_e32 vcc_lo, 0x42b17218, v11
	v_cndmask_b32_e32 v11, 0x7f800000, v15, vcc_lo
	v_cmp_ngt_f32_e32 vcc_lo, 0xc2ce8ed0, v13
	s_delay_alu instid0(VALU_DEP_2) | instskip(SKIP_3) | instid1(VALU_DEP_2)
	v_dual_add_f32 v15, v10, v11 :: v_dual_cndmask_b32 v14, 0, v17
	v_cmp_nlt_f32_e32 vcc_lo, 0x42b17218, v12
	v_cndmask_b32_e32 v12, 0x7f800000, v16, vcc_lo
	v_cmp_nlt_f32_e32 vcc_lo, 0x42b17218, v13
	v_dual_cndmask_b32 v13, 0x7f800000, v14 :: v_dual_add_f32 v14, v15, v12
	s_delay_alu instid0(VALU_DEP_1)
	v_add_f32_e32 v14, v14, v13
	ds_bpermute_b32 v15, v3, v14
	s_waitcnt lgkmcnt(0)
	v_add_f32_e32 v14, v14, v15
	ds_bpermute_b32 v15, v4, v14
	s_waitcnt lgkmcnt(0)
	v_add_f32_e32 v14, v14, v15
	ds_bpermute_b32 v15, v5, v14
	s_waitcnt lgkmcnt(0)
	v_add_f32_e32 v14, v14, v15
	ds_bpermute_b32 v15, v6, v14
	s_waitcnt lgkmcnt(0)
	v_add_f32_e32 v14, v14, v15
	ds_bpermute_b32 v15, v7, v14
	s_waitcnt lgkmcnt(0)
	v_add_f32_e32 v14, v14, v15
	s_delay_alu instid0(VALU_DEP_1) | instskip(SKIP_1) | instid1(VALU_DEP_2)
	v_div_scale_f32 v15, null, v14, v14, 1.0
	v_div_scale_f32 v18, vcc_lo, 1.0, v14, 1.0
	v_rcp_f32_e32 v16, v15
	s_waitcnt_depctr 0xfff
	v_fma_f32 v17, -v15, v16, 1.0
	s_delay_alu instid0(VALU_DEP_1) | instskip(NEXT) | instid1(VALU_DEP_1)
	v_fmac_f32_e32 v16, v17, v16
	v_mul_f32_e32 v17, v18, v16
	s_delay_alu instid0(VALU_DEP_1) | instskip(NEXT) | instid1(VALU_DEP_1)
	v_fma_f32 v19, -v15, v17, v18
	v_fmac_f32_e32 v17, v19, v16
	s_delay_alu instid0(VALU_DEP_1) | instskip(NEXT) | instid1(VALU_DEP_1)
	v_fma_f32 v15, -v15, v17, v18
	v_div_fmas_f32 v15, v15, v16, v17
	s_delay_alu instid0(VALU_DEP_1) | instskip(NEXT) | instid1(VALU_DEP_1)
	v_div_fixup_f32 v14, v15, v14, 1.0
	v_mul_f32_e32 v9, v14, v11
	v_mul_f32_e32 v11, v14, v13
	;; [unrolled: 1-line block ×4, first 2 shown]
	ds_store_b128 v0, v[8:11]
	s_cbranch_scc1 .LBB15_30
; %bb.4:
	s_load_b128 s[8:11], s[2:3], 0x20
	v_mul_lo_u32 v8, v1, s4
	v_dual_mov_b32 v10, 0xc61c4000 :: v_dual_lshlrev_b32 v9, 2, v2
	v_cmp_eq_u32_e32 vcc_lo, 0, v2
	s_branch .LBB15_6
.LBB15_5:                               ;   in Loop: Header=BB15_6 Depth=1
	s_or_b32 exec_lo, exec_lo, s0
	v_add_nc_u32_e32 v1, s14, v1
	s_cmp_lg_u32 s4, s7
	s_cbranch_scc0 .LBB15_30
.LBB15_6:                               ; =>This Inner Loop Header: Depth=1
	ds_load_b128 v[11:14], v0
	s_mov_b32 s3, exec_lo
	s_waitcnt lgkmcnt(0)
	v_cmp_gt_f32_e64 s0, v12, v11
	s_delay_alu instid0(VALU_DEP_1) | instskip(SKIP_1) | instid1(VALU_DEP_2)
	v_cndmask_b32_e64 v11, v11, v12, s0
	v_cndmask_b32_e64 v12, 0, 1, s0
	v_cmp_gt_f32_e64 s0, v13, v11
	s_delay_alu instid0(VALU_DEP_1) | instskip(NEXT) | instid1(VALU_DEP_3)
	v_cndmask_b32_e64 v11, v11, v13, s0
	v_cndmask_b32_e64 v13, v12, 2, s0
	s_delay_alu instid0(VALU_DEP_2) | instskip(NEXT) | instid1(VALU_DEP_1)
	v_cmp_gt_f32_e64 s0, v14, v11
	v_cndmask_b32_e64 v12, v11, v14, s0
	s_delay_alu instid0(VALU_DEP_3)
	v_cndmask_b32_e64 v11, v13, 3, s0
	ds_bpermute_b32 v13, v3, v12
	v_or_b32_e32 v11, v9, v11
	ds_bpermute_b32 v14, v3, v11
	s_waitcnt lgkmcnt(1)
	v_cmp_lt_f32_e64 s2, v12, v13
	v_cmpx_nlt_f32_e32 v12, v13
	s_cbranch_execz .LBB15_8
; %bb.7:                                ;   in Loop: Header=BB15_6 Depth=1
	v_cmp_eq_f32_e64 s0, v12, v13
	s_waitcnt lgkmcnt(0)
	v_cmp_lt_i32_e64 s1, v14, v11
	s_delay_alu instid0(VALU_DEP_1) | instskip(SKIP_2) | instid1(SALU_CYCLE_1)
	s_and_b32 s0, s0, s1
	s_and_not1_b32 s1, s2, exec_lo
	s_and_b32 s0, s0, exec_lo
	s_or_b32 s2, s1, s0
.LBB15_8:                               ;   in Loop: Header=BB15_6 Depth=1
	s_or_b32 exec_lo, exec_lo, s3
	s_delay_alu instid0(VALU_DEP_2)
	s_and_saveexec_b32 s0, s2
	s_cbranch_execz .LBB15_10
; %bb.9:                                ;   in Loop: Header=BB15_6 Depth=1
	s_waitcnt lgkmcnt(0)
	v_dual_mov_b32 v12, v13 :: v_dual_mov_b32 v11, v14
.LBB15_10:                              ;   in Loop: Header=BB15_6 Depth=1
	s_or_b32 exec_lo, exec_lo, s0
	s_waitcnt lgkmcnt(0)
	ds_bpermute_b32 v14, v4, v12
	ds_bpermute_b32 v13, v4, v11
	s_mov_b32 s3, exec_lo
	s_waitcnt lgkmcnt(1)
	v_cmp_lt_f32_e64 s2, v12, v14
	v_cmpx_nlt_f32_e32 v12, v14
	s_cbranch_execz .LBB15_12
; %bb.11:                               ;   in Loop: Header=BB15_6 Depth=1
	v_cmp_eq_f32_e64 s0, v12, v14
	s_waitcnt lgkmcnt(0)
	v_cmp_lt_i32_e64 s1, v13, v11
	s_delay_alu instid0(VALU_DEP_1) | instskip(SKIP_2) | instid1(SALU_CYCLE_1)
	s_and_b32 s0, s0, s1
	s_and_not1_b32 s1, s2, exec_lo
	s_and_b32 s0, s0, exec_lo
	s_or_b32 s2, s1, s0
.LBB15_12:                              ;   in Loop: Header=BB15_6 Depth=1
	s_or_b32 exec_lo, exec_lo, s3
	s_delay_alu instid0(VALU_DEP_2)
	s_and_saveexec_b32 s0, s2
	s_cbranch_execz .LBB15_14
; %bb.13:                               ;   in Loop: Header=BB15_6 Depth=1
	s_waitcnt lgkmcnt(0)
	v_dual_mov_b32 v12, v14 :: v_dual_mov_b32 v11, v13
.LBB15_14:                              ;   in Loop: Header=BB15_6 Depth=1
	s_or_b32 exec_lo, exec_lo, s0
	ds_bpermute_b32 v14, v5, v12
	s_waitcnt lgkmcnt(1)
	ds_bpermute_b32 v13, v5, v11
	s_mov_b32 s3, exec_lo
	s_waitcnt lgkmcnt(1)
	v_cmp_lt_f32_e64 s2, v12, v14
	v_cmpx_nlt_f32_e32 v12, v14
	s_cbranch_execz .LBB15_16
; %bb.15:                               ;   in Loop: Header=BB15_6 Depth=1
	v_cmp_eq_f32_e64 s0, v12, v14
	s_waitcnt lgkmcnt(0)
	v_cmp_lt_i32_e64 s1, v13, v11
	s_delay_alu instid0(VALU_DEP_1) | instskip(SKIP_2) | instid1(SALU_CYCLE_1)
	s_and_b32 s0, s0, s1
	s_and_not1_b32 s1, s2, exec_lo
	s_and_b32 s0, s0, exec_lo
	s_or_b32 s2, s1, s0
.LBB15_16:                              ;   in Loop: Header=BB15_6 Depth=1
	s_or_b32 exec_lo, exec_lo, s3
	s_delay_alu instid0(VALU_DEP_2)
	s_and_saveexec_b32 s0, s2
	s_cbranch_execz .LBB15_18
; %bb.17:                               ;   in Loop: Header=BB15_6 Depth=1
	s_waitcnt lgkmcnt(0)
	v_dual_mov_b32 v12, v14 :: v_dual_mov_b32 v11, v13
.LBB15_18:                              ;   in Loop: Header=BB15_6 Depth=1
	s_or_b32 exec_lo, exec_lo, s0
	ds_bpermute_b32 v14, v6, v12
	s_waitcnt lgkmcnt(1)
	ds_bpermute_b32 v13, v6, v11
	s_mov_b32 s3, exec_lo
	s_waitcnt lgkmcnt(1)
	v_cmp_lt_f32_e64 s2, v12, v14
	v_cmpx_nlt_f32_e32 v12, v14
	s_cbranch_execz .LBB15_20
; %bb.19:                               ;   in Loop: Header=BB15_6 Depth=1
	v_cmp_eq_f32_e64 s0, v12, v14
	s_waitcnt lgkmcnt(0)
	v_cmp_lt_i32_e64 s1, v13, v11
	s_delay_alu instid0(VALU_DEP_1) | instskip(SKIP_2) | instid1(SALU_CYCLE_1)
	s_and_b32 s0, s0, s1
	s_and_not1_b32 s1, s2, exec_lo
	s_and_b32 s0, s0, exec_lo
	s_or_b32 s2, s1, s0
.LBB15_20:                              ;   in Loop: Header=BB15_6 Depth=1
	s_or_b32 exec_lo, exec_lo, s3
	s_delay_alu instid0(VALU_DEP_2)
	s_and_saveexec_b32 s0, s2
	s_cbranch_execz .LBB15_22
; %bb.21:                               ;   in Loop: Header=BB15_6 Depth=1
	s_waitcnt lgkmcnt(0)
	v_dual_mov_b32 v12, v14 :: v_dual_mov_b32 v11, v13
.LBB15_22:                              ;   in Loop: Header=BB15_6 Depth=1
	s_or_b32 exec_lo, exec_lo, s0
	s_waitcnt lgkmcnt(0)
	ds_bpermute_b32 v13, v7, v12
	ds_bpermute_b32 v14, v7, v11
	s_mov_b32 s3, exec_lo
	s_waitcnt lgkmcnt(1)
	v_cmp_lt_f32_e64 s2, v12, v13
	v_cmpx_nlt_f32_e32 v12, v13
	s_cbranch_execnz .LBB15_28
; %bb.23:                               ;   in Loop: Header=BB15_6 Depth=1
	s_or_b32 exec_lo, exec_lo, s3
	s_delay_alu instid0(VALU_DEP_2)
	s_and_saveexec_b32 s0, s2
	s_cbranch_execnz .LBB15_29
.LBB15_24:                              ;   in Loop: Header=BB15_6 Depth=1
	s_or_b32 exec_lo, exec_lo, s0
	s_and_saveexec_b32 s2, vcc_lo
	s_cbranch_execz .LBB15_26
.LBB15_25:                              ;   in Loop: Header=BB15_6 Depth=1
	v_add_nc_u32_e32 v13, s7, v8
	v_cmp_le_i32_e64 s0, s5, v11
	v_cmp_gt_i32_e64 s1, s6, v11
	v_subrev_nc_u32_e32 v15, s5, v11
	s_waitcnt lgkmcnt(0)
	v_ashrrev_i32_e32 v14, 31, v13
	s_delay_alu instid0(VALU_DEP_3) | instskip(NEXT) | instid1(SALU_CYCLE_1)
	s_and_b32 s0, s0, s1
	s_and_b32 s0, s15, s0
	s_delay_alu instid0(VALU_DEP_1) | instskip(SKIP_1) | instid1(VALU_DEP_2)
	v_lshlrev_b64 v[13:14], 2, v[13:14]
	v_cndmask_b32_e64 v19, 0x80, v15, s0
	v_add_co_u32 v15, s0, s12, v13
	s_delay_alu instid0(VALU_DEP_1) | instskip(SKIP_1) | instid1(VALU_DEP_1)
	v_add_co_ci_u32_e64 v16, s0, s13, v14, s0
	v_add_co_u32 v17, s0, s8, v13
	v_add_co_ci_u32_e64 v18, s0, s9, v14, s0
	v_add_co_u32 v13, s0, s10, v13
	s_delay_alu instid0(VALU_DEP_1)
	v_add_co_ci_u32_e64 v14, s0, s11, v14, s0
	global_store_b32 v[15:16], v12, off
	global_store_b32 v[17:18], v19, off
	;; [unrolled: 1-line block ×3, first 2 shown]
.LBB15_26:                              ;   in Loop: Header=BB15_6 Depth=1
	s_or_b32 exec_lo, exec_lo, s2
	v_ashrrev_i32_e32 v12, 31, v11
	s_add_i32 s7, s7, 1
	s_delay_alu instid0(SALU_CYCLE_1) | instskip(SKIP_1) | instid1(VALU_DEP_1)
	s_cmp_lt_i32 s7, s4
	s_cselect_b32 s1, -1, 0
	v_lshrrev_b32_e32 v13, 30, v12
	s_delay_alu instid0(VALU_DEP_1) | instskip(SKIP_1) | instid1(VALU_DEP_1)
	v_add_nc_u32_e32 v13, v11, v13
	s_waitcnt lgkmcnt(0)
	v_ashrrev_i32_e32 v14, 31, v13
	v_ashrrev_i32_e32 v13, 2, v13
	s_delay_alu instid0(VALU_DEP_2) | instskip(NEXT) | instid1(VALU_DEP_1)
	v_lshrrev_b32_e32 v14, 27, v14
	v_add_nc_u32_e32 v14, v13, v14
	s_delay_alu instid0(VALU_DEP_1) | instskip(NEXT) | instid1(VALU_DEP_1)
	v_and_b32_e32 v14, 0xffffffe0, v14
	v_sub_nc_u32_e32 v14, v13, v14
	s_delay_alu instid0(VALU_DEP_1) | instskip(NEXT) | instid1(VALU_DEP_1)
	v_cmp_eq_u32_e64 s0, v2, v14
	s_and_b32 s1, s1, s0
	s_delay_alu instid0(SALU_CYCLE_1)
	s_and_saveexec_b32 s0, s1
	s_cbranch_execz .LBB15_5
; %bb.27:                               ;   in Loop: Header=BB15_6 Depth=1
	v_lshrrev_b32_e32 v12, 25, v12
	v_lshlrev_b32_e32 v13, 2, v13
	s_delay_alu instid0(VALU_DEP_2) | instskip(NEXT) | instid1(VALU_DEP_2)
	v_add_nc_u32_e32 v12, v11, v12
	v_sub_nc_u32_e32 v11, v11, v13
	s_delay_alu instid0(VALU_DEP_2) | instskip(NEXT) | instid1(VALU_DEP_1)
	v_ashrrev_i32_e32 v12, 7, v12
	v_lshl_add_u32 v11, v12, 2, v11
	s_delay_alu instid0(VALU_DEP_1)
	v_lshl_add_u32 v11, v11, 2, v0
	ds_store_b32 v11, v10
	s_branch .LBB15_5
.LBB15_28:                              ;   in Loop: Header=BB15_6 Depth=1
	v_cmp_eq_f32_e64 s0, v12, v13
	s_waitcnt lgkmcnt(0)
	v_cmp_lt_i32_e64 s1, v14, v11
	s_delay_alu instid0(VALU_DEP_1) | instskip(SKIP_2) | instid1(SALU_CYCLE_1)
	s_and_b32 s0, s0, s1
	s_and_not1_b32 s1, s2, exec_lo
	s_and_b32 s0, s0, exec_lo
	s_or_b32 s2, s1, s0
	s_or_b32 exec_lo, exec_lo, s3
	s_and_saveexec_b32 s0, s2
	s_cbranch_execz .LBB15_24
.LBB15_29:                              ;   in Loop: Header=BB15_6 Depth=1
	s_waitcnt lgkmcnt(0)
	v_dual_mov_b32 v12, v13 :: v_dual_mov_b32 v11, v14
	s_or_b32 exec_lo, exec_lo, s0
	s_and_saveexec_b32 s2, vcc_lo
	s_cbranch_execnz .LBB15_25
	s_branch .LBB15_26
.LBB15_30:
	s_nop 0
	s_sendmsg sendmsg(MSG_DEALLOC_VGPRS)
	s_endpgm
	.section	.rodata,"a",@progbits
	.p2align	6, 0x0
	.amdhsa_kernel _ZN4vllm3moe17topkGatingSoftmaxILi4ELi128ELi4ELi16ELi32EiEEvPKfPKbPfiPT4_Piiii
		.amdhsa_group_segment_fixed_size 2048
		.amdhsa_private_segment_fixed_size 0
		.amdhsa_kernarg_size 60
		.amdhsa_user_sgpr_count 15
		.amdhsa_user_sgpr_dispatch_ptr 1
		.amdhsa_user_sgpr_queue_ptr 0
		.amdhsa_user_sgpr_kernarg_segment_ptr 1
		.amdhsa_user_sgpr_dispatch_id 0
		.amdhsa_user_sgpr_private_segment_size 0
		.amdhsa_wavefront_size32 1
		.amdhsa_uses_dynamic_stack 0
		.amdhsa_enable_private_segment 0
		.amdhsa_system_sgpr_workgroup_id_x 1
		.amdhsa_system_sgpr_workgroup_id_y 0
		.amdhsa_system_sgpr_workgroup_id_z 0
		.amdhsa_system_sgpr_workgroup_info 0
		.amdhsa_system_vgpr_workitem_id 2
		.amdhsa_next_free_vgpr 26
		.amdhsa_next_free_sgpr 16
		.amdhsa_reserve_vcc 1
		.amdhsa_float_round_mode_32 0
		.amdhsa_float_round_mode_16_64 0
		.amdhsa_float_denorm_mode_32 3
		.amdhsa_float_denorm_mode_16_64 3
		.amdhsa_dx10_clamp 1
		.amdhsa_ieee_mode 1
		.amdhsa_fp16_overflow 0
		.amdhsa_workgroup_processor_mode 1
		.amdhsa_memory_ordered 1
		.amdhsa_forward_progress 0
		.amdhsa_shared_vgpr_count 0
		.amdhsa_exception_fp_ieee_invalid_op 0
		.amdhsa_exception_fp_denorm_src 0
		.amdhsa_exception_fp_ieee_div_zero 0
		.amdhsa_exception_fp_ieee_overflow 0
		.amdhsa_exception_fp_ieee_underflow 0
		.amdhsa_exception_fp_ieee_inexact 0
		.amdhsa_exception_int_div_zero 0
	.end_amdhsa_kernel
	.section	.text._ZN4vllm3moe17topkGatingSoftmaxILi4ELi128ELi4ELi16ELi32EiEEvPKfPKbPfiPT4_Piiii,"axG",@progbits,_ZN4vllm3moe17topkGatingSoftmaxILi4ELi128ELi4ELi16ELi32EiEEvPKfPKbPfiPT4_Piiii,comdat
.Lfunc_end15:
	.size	_ZN4vllm3moe17topkGatingSoftmaxILi4ELi128ELi4ELi16ELi32EiEEvPKfPKbPfiPT4_Piiii, .Lfunc_end15-_ZN4vllm3moe17topkGatingSoftmaxILi4ELi128ELi4ELi16ELi32EiEEvPKfPKbPfiPT4_Piiii
                                        ; -- End function
	.section	.AMDGPU.csdata,"",@progbits
; Kernel info:
; codeLenInByte = 2248
; NumSgprs: 18
; NumVgprs: 26
; ScratchSize: 0
; MemoryBound: 0
; FloatMode: 240
; IeeeMode: 1
; LDSByteSize: 2048 bytes/workgroup (compile time only)
; SGPRBlocks: 2
; VGPRBlocks: 3
; NumSGPRsForWavesPerEU: 18
; NumVGPRsForWavesPerEU: 26
; Occupancy: 16
; WaveLimiterHint : 0
; COMPUTE_PGM_RSRC2:SCRATCH_EN: 0
; COMPUTE_PGM_RSRC2:USER_SGPR: 15
; COMPUTE_PGM_RSRC2:TRAP_HANDLER: 0
; COMPUTE_PGM_RSRC2:TGID_X_EN: 1
; COMPUTE_PGM_RSRC2:TGID_Y_EN: 0
; COMPUTE_PGM_RSRC2:TGID_Z_EN: 0
; COMPUTE_PGM_RSRC2:TIDIG_COMP_CNT: 2
	.section	.text._ZN4vllm3moe17topkGatingSoftmaxILi4ELi256ELi4ELi16ELi64EiEEvPKfPKbPfiPT4_Piiii,"axG",@progbits,_ZN4vllm3moe17topkGatingSoftmaxILi4ELi256ELi4ELi16ELi64EiEEvPKfPKbPfiPT4_Piiii,comdat
	.protected	_ZN4vllm3moe17topkGatingSoftmaxILi4ELi256ELi4ELi16ELi64EiEEvPKfPKbPfiPT4_Piiii ; -- Begin function _ZN4vllm3moe17topkGatingSoftmaxILi4ELi256ELi4ELi16ELi64EiEEvPKfPKbPfiPT4_Piiii
	.globl	_ZN4vllm3moe17topkGatingSoftmaxILi4ELi256ELi4ELi16ELi64EiEEvPKfPKbPfiPT4_Piiii
	.p2align	8
	.type	_ZN4vllm3moe17topkGatingSoftmaxILi4ELi256ELi4ELi16ELi64EiEEvPKfPKbPfiPT4_Piiii,@function
_ZN4vllm3moe17topkGatingSoftmaxILi4ELi256ELi4ELi16ELi64EiEEvPKfPKbPfiPT4_Piiii: ; @_ZN4vllm3moe17topkGatingSoftmaxILi4ELi256ELi4ELi16ELi64EiEEvPKfPKbPfiPT4_Piiii
; %bb.0:
	s_load_b32 s14, s[2:3], 0x18
	v_and_b32_e32 v10, 0x3ff, v0
	v_bfe_u32 v9, v0, 10, 10
	s_lshl_b32 s4, s15, 2
	s_delay_alu instid0(VALU_DEP_2) | instskip(NEXT) | instid1(VALU_DEP_1)
	v_lshrrev_b32_e32 v1, 6, v10
	v_add3_u32 v1, s4, v9, v1
	s_mov_b32 s4, exec_lo
	s_waitcnt lgkmcnt(0)
	s_delay_alu instid0(VALU_DEP_1)
	v_cmpx_gt_i32_e64 s14, v1
	s_cbranch_execz .LBB16_34
; %bb.1:
	s_clause 0x1
	s_load_b128 s[4:7], s[2:3], 0x0
	s_load_b64 s[12:13], s[2:3], 0x10
	s_mov_b32 s15, -1
	s_waitcnt lgkmcnt(0)
	s_cmp_eq_u64 s[6:7], 0
	s_cbranch_scc1 .LBB16_3
; %bb.2:
	v_ashrrev_i32_e32 v3, 31, v1
	v_add_co_u32 v2, vcc_lo, s6, v1
	s_delay_alu instid0(VALU_DEP_2) | instskip(SKIP_3) | instid1(VALU_DEP_1)
	v_add_co_ci_u32_e32 v3, vcc_lo, s7, v3, vcc_lo
	global_load_u8 v2, v[2:3], off
	s_waitcnt vmcnt(0)
	v_and_b32_e32 v2, 1, v2
	v_cmp_eq_u32_e32 vcc_lo, 1, v2
	s_xor_b32 s6, vcc_lo, -1
	s_delay_alu instid0(SALU_CYCLE_1)
	s_or_not1_b32 s15, s6, exec_lo
.LBB16_3:
	v_lshlrev_b32_e32 v3, 8, v1
	v_and_b32_e32 v2, 63, v10
	v_mbcnt_lo_u32_b32 v8, -1, 0
	s_load_b64 s[0:1], s[0:1], 0x4
	v_bfe_u32 v0, v0, 20, 10
	v_ashrrev_i32_e32 v4, 31, v3
	v_lshlrev_b32_e32 v5, 4, v2
	v_xor_b32_e32 v6, 16, v8
	s_delay_alu instid0(VALU_DEP_3) | instskip(NEXT) | instid1(VALU_DEP_1)
	v_lshlrev_b64 v[3:4], 2, v[3:4]
	v_add_co_u32 v3, vcc_lo, s4, v3
	s_delay_alu instid0(VALU_DEP_2) | instskip(SKIP_1) | instid1(VALU_DEP_2)
	v_add_co_ci_u32_e32 v4, vcc_lo, s5, v4, vcc_lo
	s_load_b128 s[4:7], s[2:3], 0x30
	v_add_co_u32 v3, vcc_lo, v3, v5
	s_delay_alu instid0(VALU_DEP_2)
	v_add_co_ci_u32_e32 v4, vcc_lo, 0, v4, vcc_lo
	s_waitcnt lgkmcnt(0)
	s_lshr_b32 s0, s0, 16
	s_mov_b32 s7, 0
	s_mul_i32 s0, s0, s1
	global_load_b128 v[11:14], v[3:4], off
	v_or_b32_e32 v3, 32, v8
	v_mul_lo_u32 v10, s0, v10
	s_delay_alu instid0(VALU_DEP_2) | instskip(NEXT) | instid1(VALU_DEP_2)
	v_cmp_gt_i32_e32 vcc_lo, 64, v3
	v_mad_u32_u24 v9, v9, s1, v10
	s_cmp_lt_i32 s4, 1
	s_delay_alu instid0(VALU_DEP_1) | instskip(SKIP_4) | instid1(VALU_DEP_2)
	v_add_lshl_u32 v0, v9, v0, 4
	s_waitcnt vmcnt(0)
	v_dual_max_f32 v4, v12, v12 :: v_dual_max_f32 v5, v11, v11
	v_cndmask_b32_e32 v3, v8, v3, vcc_lo
	v_cmp_gt_i32_e32 vcc_lo, 64, v6
	v_dual_max_f32 v4, v5, v4 :: v_dual_lshlrev_b32 v3, 2, v3
	v_cndmask_b32_e32 v6, v8, v6, vcc_lo
	s_delay_alu instid0(VALU_DEP_2) | instskip(SKIP_3) | instid1(VALU_DEP_1)
	v_max3_f32 v5, v4, v13, v14
	ds_bpermute_b32 v4, v3, v5
	s_waitcnt lgkmcnt(0)
	v_dual_max_f32 v7, v4, v4 :: v_dual_lshlrev_b32 v4, 2, v6
	v_max_f32_e32 v6, v5, v7
	v_xor_b32_e32 v7, 8, v8
	ds_bpermute_b32 v5, v4, v6
	v_cmp_gt_i32_e32 vcc_lo, 64, v7
	v_cndmask_b32_e32 v7, v8, v7, vcc_lo
	s_waitcnt lgkmcnt(0)
	v_max_f32_e32 v15, v5, v5
	s_delay_alu instid0(VALU_DEP_2) | instskip(NEXT) | instid1(VALU_DEP_2)
	v_lshlrev_b32_e32 v5, 2, v7
	v_max_f32_e32 v7, v6, v15
	v_xor_b32_e32 v15, 4, v8
	ds_bpermute_b32 v6, v5, v7
	v_cmp_gt_i32_e32 vcc_lo, 64, v15
	s_waitcnt lgkmcnt(0)
	v_dual_cndmask_b32 v15, v8, v15 :: v_dual_max_f32 v16, v6, v6
	s_delay_alu instid0(VALU_DEP_1)
	v_dual_max_f32 v15, v7, v16 :: v_dual_lshlrev_b32 v6, 2, v15
	v_xor_b32_e32 v16, 2, v8
	ds_bpermute_b32 v7, v6, v15
	v_cmp_gt_i32_e32 vcc_lo, 64, v16
	s_waitcnt lgkmcnt(0)
	v_dual_cndmask_b32 v16, v8, v16 :: v_dual_max_f32 v17, v7, v7
	s_delay_alu instid0(VALU_DEP_1) | instskip(NEXT) | instid1(VALU_DEP_2)
	v_lshlrev_b32_e32 v7, 2, v16
	v_max_f32_e32 v15, v15, v17
	v_xor_b32_e32 v17, 1, v8
	ds_bpermute_b32 v16, v7, v15
	v_cmp_gt_i32_e32 vcc_lo, 64, v17
	v_cndmask_b32_e32 v8, v8, v17, vcc_lo
	s_delay_alu instid0(VALU_DEP_1) | instskip(SKIP_2) | instid1(VALU_DEP_1)
	v_lshlrev_b32_e32 v8, 2, v8
	s_waitcnt lgkmcnt(0)
	v_max_f32_e32 v16, v16, v16
	v_max_f32_e32 v15, v15, v16
	ds_bpermute_b32 v16, v8, v15
	s_waitcnt lgkmcnt(0)
	v_max_f32_e32 v16, v16, v16
	s_delay_alu instid0(VALU_DEP_1) | instskip(NEXT) | instid1(VALU_DEP_1)
	v_max_f32_e32 v15, v15, v16
	v_sub_f32_e32 v12, v12, v15
	s_delay_alu instid0(VALU_DEP_1) | instskip(NEXT) | instid1(VALU_DEP_1)
	v_mul_f32_e32 v16, 0x3fb8aa3b, v12
	v_fma_f32 v21, 0x3fb8aa3b, v12, -v16
	v_rndne_f32_e32 v22, v16
	s_delay_alu instid0(VALU_DEP_1) | instskip(NEXT) | instid1(VALU_DEP_1)
	v_dual_fmac_f32 v21, 0x32a5705f, v12 :: v_dual_sub_f32 v16, v16, v22
	v_dual_sub_f32 v13, v13, v15 :: v_dual_add_f32 v16, v16, v21
	s_delay_alu instid0(VALU_DEP_1) | instskip(NEXT) | instid1(VALU_DEP_2)
	v_dual_sub_f32 v14, v14, v15 :: v_dual_mul_f32 v17, 0x3fb8aa3b, v13
	v_exp_f32_e32 v16, v16
	s_delay_alu instid0(VALU_DEP_1) | instskip(NEXT) | instid1(VALU_DEP_2)
	v_mul_f32_e32 v18, 0x3fb8aa3b, v14
	v_fma_f32 v23, 0x3fb8aa3b, v13, -v17
	v_rndne_f32_e32 v24, v17
	s_delay_alu instid0(VALU_DEP_3)
	v_fma_f32 v25, 0x3fb8aa3b, v14, -v18
	v_rndne_f32_e32 v26, v18
	v_sub_f32_e32 v11, v11, v15
	v_fmac_f32_e32 v23, 0x32a5705f, v13
	v_sub_f32_e32 v17, v17, v24
	v_fmac_f32_e32 v25, 0x32a5705f, v14
	s_delay_alu instid0(VALU_DEP_4) | instskip(SKIP_1) | instid1(VALU_DEP_4)
	v_dual_sub_f32 v18, v18, v26 :: v_dual_mul_f32 v15, 0x3fb8aa3b, v11
	v_cmp_ngt_f32_e32 vcc_lo, 0xc2ce8ed0, v11
	v_add_f32_e32 v17, v17, v23
	v_cvt_i32_f32_e32 v21, v24
	s_delay_alu instid0(VALU_DEP_4) | instskip(SKIP_3) | instid1(VALU_DEP_3)
	v_add_f32_e32 v18, v18, v25
	v_fma_f32 v19, 0x3fb8aa3b, v11, -v15
	v_rndne_f32_e32 v20, v15
	v_exp_f32_e32 v17, v17
	v_exp_f32_e32 v18, v18
	s_delay_alu instid0(VALU_DEP_2) | instskip(NEXT) | instid1(VALU_DEP_2)
	v_fmac_f32_e32 v19, 0x32a5705f, v11
	v_sub_f32_e32 v15, v15, v20
	s_delay_alu instid0(VALU_DEP_1) | instskip(SKIP_2) | instid1(TRANS32_DEP_2)
	v_add_f32_e32 v15, v15, v19
	v_cvt_i32_f32_e32 v19, v20
	v_cvt_i32_f32_e32 v20, v22
	v_ldexp_f32 v17, v17, v21
	v_cvt_i32_f32_e32 v22, v26
	v_exp_f32_e32 v15, v15
	s_delay_alu instid0(VALU_DEP_3) | instskip(NEXT) | instid1(VALU_DEP_2)
	v_ldexp_f32 v16, v16, v20
	v_ldexp_f32 v18, v18, v22
	s_waitcnt_depctr 0xfff
	v_ldexp_f32 v15, v15, v19
	s_delay_alu instid0(VALU_DEP_1)
	v_cndmask_b32_e32 v15, 0, v15, vcc_lo
	v_cmp_ngt_f32_e32 vcc_lo, 0xc2ce8ed0, v12
	v_cndmask_b32_e32 v16, 0, v16, vcc_lo
	v_cmp_ngt_f32_e32 vcc_lo, 0xc2ce8ed0, v13
	v_cndmask_b32_e32 v17, 0, v17, vcc_lo
	v_cmp_nlt_f32_e32 vcc_lo, 0x42b17218, v11
	v_cndmask_b32_e32 v11, 0x7f800000, v15, vcc_lo
	v_cmp_nlt_f32_e32 vcc_lo, 0x42b17218, v12
	v_cndmask_b32_e32 v12, 0x7f800000, v16, vcc_lo
	v_cmp_ngt_f32_e32 vcc_lo, 0xc2ce8ed0, v14
	s_delay_alu instid0(VALU_DEP_2) | instskip(SKIP_3) | instid1(VALU_DEP_2)
	v_dual_add_f32 v16, v11, v12 :: v_dual_cndmask_b32 v15, 0, v18
	v_cmp_nlt_f32_e32 vcc_lo, 0x42b17218, v13
	v_cndmask_b32_e32 v13, 0x7f800000, v17, vcc_lo
	v_cmp_nlt_f32_e32 vcc_lo, 0x42b17218, v14
	v_dual_cndmask_b32 v14, 0x7f800000, v15 :: v_dual_add_f32 v15, v16, v13
	s_delay_alu instid0(VALU_DEP_1)
	v_add_f32_e32 v15, v15, v14
	ds_bpermute_b32 v16, v3, v15
	s_waitcnt lgkmcnt(0)
	v_add_f32_e32 v15, v15, v16
	ds_bpermute_b32 v16, v4, v15
	s_waitcnt lgkmcnt(0)
	;; [unrolled: 3-line block ×6, first 2 shown]
	v_add_f32_e32 v15, v15, v16
	s_delay_alu instid0(VALU_DEP_1) | instskip(SKIP_1) | instid1(VALU_DEP_2)
	v_div_scale_f32 v16, null, v15, v15, 1.0
	v_div_scale_f32 v19, vcc_lo, 1.0, v15, 1.0
	v_rcp_f32_e32 v17, v16
	s_waitcnt_depctr 0xfff
	v_fma_f32 v18, -v16, v17, 1.0
	s_delay_alu instid0(VALU_DEP_1) | instskip(NEXT) | instid1(VALU_DEP_1)
	v_fmac_f32_e32 v17, v18, v17
	v_mul_f32_e32 v18, v19, v17
	s_delay_alu instid0(VALU_DEP_1) | instskip(NEXT) | instid1(VALU_DEP_1)
	v_fma_f32 v20, -v16, v18, v19
	v_fmac_f32_e32 v18, v20, v17
	s_delay_alu instid0(VALU_DEP_1) | instskip(NEXT) | instid1(VALU_DEP_1)
	v_fma_f32 v16, -v16, v18, v19
	v_div_fmas_f32 v16, v16, v17, v18
	s_delay_alu instid0(VALU_DEP_1) | instskip(NEXT) | instid1(VALU_DEP_1)
	v_div_fixup_f32 v15, v16, v15, 1.0
	v_mul_f32_e32 v9, v15, v11
	v_mul_f32_e32 v10, v15, v12
	;; [unrolled: 1-line block ×4, first 2 shown]
	ds_store_b128 v0, v[9:12]
	s_cbranch_scc1 .LBB16_34
; %bb.4:
	s_load_b128 s[8:11], s[2:3], 0x20
	v_mul_lo_u32 v9, v1, s4
	v_dual_mov_b32 v11, 0xc61c4000 :: v_dual_lshlrev_b32 v10, 2, v2
	v_cmp_eq_u32_e32 vcc_lo, 0, v2
	s_branch .LBB16_6
.LBB16_5:                               ;   in Loop: Header=BB16_6 Depth=1
	s_or_b32 exec_lo, exec_lo, s0
	v_add_nc_u32_e32 v1, s14, v1
	s_cmp_lg_u32 s4, s7
	s_cbranch_scc0 .LBB16_34
.LBB16_6:                               ; =>This Inner Loop Header: Depth=1
	ds_load_b128 v[12:15], v0
	s_mov_b32 s3, exec_lo
	s_waitcnt lgkmcnt(0)
	v_cmp_gt_f32_e64 s0, v13, v12
	s_delay_alu instid0(VALU_DEP_1) | instskip(SKIP_1) | instid1(VALU_DEP_2)
	v_cndmask_b32_e64 v12, v12, v13, s0
	v_cndmask_b32_e64 v13, 0, 1, s0
	v_cmp_gt_f32_e64 s0, v14, v12
	s_delay_alu instid0(VALU_DEP_1) | instskip(NEXT) | instid1(VALU_DEP_3)
	v_cndmask_b32_e64 v12, v12, v14, s0
	v_cndmask_b32_e64 v14, v13, 2, s0
	s_delay_alu instid0(VALU_DEP_2) | instskip(NEXT) | instid1(VALU_DEP_1)
	v_cmp_gt_f32_e64 s0, v15, v12
	v_cndmask_b32_e64 v13, v12, v15, s0
	s_delay_alu instid0(VALU_DEP_3)
	v_cndmask_b32_e64 v12, v14, 3, s0
	ds_bpermute_b32 v14, v3, v13
	v_or_b32_e32 v12, v10, v12
	ds_bpermute_b32 v15, v3, v12
	s_waitcnt lgkmcnt(1)
	v_cmp_lt_f32_e64 s2, v13, v14
	v_cmpx_nlt_f32_e32 v13, v14
	s_cbranch_execz .LBB16_8
; %bb.7:                                ;   in Loop: Header=BB16_6 Depth=1
	v_cmp_eq_f32_e64 s0, v13, v14
	s_waitcnt lgkmcnt(0)
	v_cmp_lt_i32_e64 s1, v15, v12
	s_delay_alu instid0(VALU_DEP_1) | instskip(SKIP_2) | instid1(SALU_CYCLE_1)
	s_and_b32 s0, s0, s1
	s_and_not1_b32 s1, s2, exec_lo
	s_and_b32 s0, s0, exec_lo
	s_or_b32 s2, s1, s0
.LBB16_8:                               ;   in Loop: Header=BB16_6 Depth=1
	s_or_b32 exec_lo, exec_lo, s3
	s_delay_alu instid0(VALU_DEP_2)
	s_and_saveexec_b32 s0, s2
	s_cbranch_execz .LBB16_10
; %bb.9:                                ;   in Loop: Header=BB16_6 Depth=1
	s_waitcnt lgkmcnt(0)
	v_dual_mov_b32 v13, v14 :: v_dual_mov_b32 v12, v15
.LBB16_10:                              ;   in Loop: Header=BB16_6 Depth=1
	s_or_b32 exec_lo, exec_lo, s0
	s_waitcnt lgkmcnt(0)
	ds_bpermute_b32 v15, v4, v13
	ds_bpermute_b32 v14, v4, v12
	s_mov_b32 s3, exec_lo
	s_waitcnt lgkmcnt(1)
	v_cmp_lt_f32_e64 s2, v13, v15
	v_cmpx_nlt_f32_e32 v13, v15
	s_cbranch_execz .LBB16_12
; %bb.11:                               ;   in Loop: Header=BB16_6 Depth=1
	v_cmp_eq_f32_e64 s0, v13, v15
	s_waitcnt lgkmcnt(0)
	v_cmp_lt_i32_e64 s1, v14, v12
	s_delay_alu instid0(VALU_DEP_1) | instskip(SKIP_2) | instid1(SALU_CYCLE_1)
	s_and_b32 s0, s0, s1
	s_and_not1_b32 s1, s2, exec_lo
	s_and_b32 s0, s0, exec_lo
	s_or_b32 s2, s1, s0
.LBB16_12:                              ;   in Loop: Header=BB16_6 Depth=1
	s_or_b32 exec_lo, exec_lo, s3
	s_delay_alu instid0(VALU_DEP_2)
	s_and_saveexec_b32 s0, s2
	s_cbranch_execz .LBB16_14
; %bb.13:                               ;   in Loop: Header=BB16_6 Depth=1
	s_waitcnt lgkmcnt(0)
	v_dual_mov_b32 v13, v15 :: v_dual_mov_b32 v12, v14
.LBB16_14:                              ;   in Loop: Header=BB16_6 Depth=1
	s_or_b32 exec_lo, exec_lo, s0
	ds_bpermute_b32 v15, v5, v13
	s_waitcnt lgkmcnt(1)
	ds_bpermute_b32 v14, v5, v12
	s_mov_b32 s3, exec_lo
	s_waitcnt lgkmcnt(1)
	v_cmp_lt_f32_e64 s2, v13, v15
	v_cmpx_nlt_f32_e32 v13, v15
	s_cbranch_execz .LBB16_16
; %bb.15:                               ;   in Loop: Header=BB16_6 Depth=1
	v_cmp_eq_f32_e64 s0, v13, v15
	s_waitcnt lgkmcnt(0)
	v_cmp_lt_i32_e64 s1, v14, v12
	s_delay_alu instid0(VALU_DEP_1) | instskip(SKIP_2) | instid1(SALU_CYCLE_1)
	s_and_b32 s0, s0, s1
	s_and_not1_b32 s1, s2, exec_lo
	s_and_b32 s0, s0, exec_lo
	s_or_b32 s2, s1, s0
.LBB16_16:                              ;   in Loop: Header=BB16_6 Depth=1
	s_or_b32 exec_lo, exec_lo, s3
	s_delay_alu instid0(VALU_DEP_2)
	s_and_saveexec_b32 s0, s2
	s_cbranch_execz .LBB16_18
; %bb.17:                               ;   in Loop: Header=BB16_6 Depth=1
	s_waitcnt lgkmcnt(0)
	v_dual_mov_b32 v13, v15 :: v_dual_mov_b32 v12, v14
.LBB16_18:                              ;   in Loop: Header=BB16_6 Depth=1
	s_or_b32 exec_lo, exec_lo, s0
	ds_bpermute_b32 v15, v6, v13
	s_waitcnt lgkmcnt(1)
	;; [unrolled: 27-line block ×3, first 2 shown]
	ds_bpermute_b32 v14, v7, v12
	s_mov_b32 s3, exec_lo
	s_waitcnt lgkmcnt(1)
	v_cmp_lt_f32_e64 s2, v13, v15
	v_cmpx_nlt_f32_e32 v13, v15
	s_cbranch_execz .LBB16_24
; %bb.23:                               ;   in Loop: Header=BB16_6 Depth=1
	v_cmp_eq_f32_e64 s0, v13, v15
	s_waitcnt lgkmcnt(0)
	v_cmp_lt_i32_e64 s1, v14, v12
	s_delay_alu instid0(VALU_DEP_1) | instskip(SKIP_2) | instid1(SALU_CYCLE_1)
	s_and_b32 s0, s0, s1
	s_and_not1_b32 s1, s2, exec_lo
	s_and_b32 s0, s0, exec_lo
	s_or_b32 s2, s1, s0
.LBB16_24:                              ;   in Loop: Header=BB16_6 Depth=1
	s_or_b32 exec_lo, exec_lo, s3
	s_delay_alu instid0(VALU_DEP_2)
	s_and_saveexec_b32 s0, s2
	s_cbranch_execz .LBB16_26
; %bb.25:                               ;   in Loop: Header=BB16_6 Depth=1
	s_waitcnt lgkmcnt(0)
	v_dual_mov_b32 v13, v15 :: v_dual_mov_b32 v12, v14
.LBB16_26:                              ;   in Loop: Header=BB16_6 Depth=1
	s_or_b32 exec_lo, exec_lo, s0
	s_waitcnt lgkmcnt(0)
	ds_bpermute_b32 v14, v8, v13
	ds_bpermute_b32 v15, v8, v12
	s_mov_b32 s3, exec_lo
	s_waitcnt lgkmcnt(1)
	v_cmp_lt_f32_e64 s2, v13, v14
	v_cmpx_nlt_f32_e32 v13, v14
	s_cbranch_execnz .LBB16_32
; %bb.27:                               ;   in Loop: Header=BB16_6 Depth=1
	s_or_b32 exec_lo, exec_lo, s3
	s_delay_alu instid0(VALU_DEP_2)
	s_and_saveexec_b32 s0, s2
	s_cbranch_execnz .LBB16_33
.LBB16_28:                              ;   in Loop: Header=BB16_6 Depth=1
	s_or_b32 exec_lo, exec_lo, s0
	s_and_saveexec_b32 s2, vcc_lo
	s_cbranch_execz .LBB16_30
.LBB16_29:                              ;   in Loop: Header=BB16_6 Depth=1
	v_add_nc_u32_e32 v14, s7, v9
	v_cmp_le_i32_e64 s0, s5, v12
	v_cmp_gt_i32_e64 s1, s6, v12
	v_subrev_nc_u32_e32 v16, s5, v12
	s_waitcnt lgkmcnt(0)
	v_ashrrev_i32_e32 v15, 31, v14
	s_delay_alu instid0(VALU_DEP_3) | instskip(NEXT) | instid1(SALU_CYCLE_1)
	s_and_b32 s0, s0, s1
	s_and_b32 s0, s15, s0
	s_delay_alu instid0(VALU_DEP_1) | instskip(SKIP_1) | instid1(VALU_DEP_2)
	v_lshlrev_b64 v[14:15], 2, v[14:15]
	v_cndmask_b32_e64 v20, 0x100, v16, s0
	v_add_co_u32 v16, s0, s12, v14
	s_delay_alu instid0(VALU_DEP_1) | instskip(SKIP_1) | instid1(VALU_DEP_1)
	v_add_co_ci_u32_e64 v17, s0, s13, v15, s0
	v_add_co_u32 v18, s0, s8, v14
	v_add_co_ci_u32_e64 v19, s0, s9, v15, s0
	v_add_co_u32 v14, s0, s10, v14
	s_delay_alu instid0(VALU_DEP_1)
	v_add_co_ci_u32_e64 v15, s0, s11, v15, s0
	global_store_b32 v[16:17], v13, off
	global_store_b32 v[18:19], v20, off
	;; [unrolled: 1-line block ×3, first 2 shown]
.LBB16_30:                              ;   in Loop: Header=BB16_6 Depth=1
	s_or_b32 exec_lo, exec_lo, s2
	v_ashrrev_i32_e32 v13, 31, v12
	s_add_i32 s7, s7, 1
	s_delay_alu instid0(SALU_CYCLE_1) | instskip(SKIP_1) | instid1(VALU_DEP_1)
	s_cmp_lt_i32 s7, s4
	s_cselect_b32 s1, -1, 0
	v_lshrrev_b32_e32 v14, 30, v13
	s_delay_alu instid0(VALU_DEP_1) | instskip(SKIP_1) | instid1(VALU_DEP_1)
	v_add_nc_u32_e32 v14, v12, v14
	s_waitcnt lgkmcnt(0)
	v_ashrrev_i32_e32 v15, 31, v14
	v_ashrrev_i32_e32 v14, 2, v14
	s_delay_alu instid0(VALU_DEP_2) | instskip(NEXT) | instid1(VALU_DEP_1)
	v_lshrrev_b32_e32 v15, 26, v15
	v_add_nc_u32_e32 v15, v14, v15
	s_delay_alu instid0(VALU_DEP_1) | instskip(NEXT) | instid1(VALU_DEP_1)
	v_and_b32_e32 v15, 0xffffffc0, v15
	v_sub_nc_u32_e32 v15, v14, v15
	s_delay_alu instid0(VALU_DEP_1) | instskip(NEXT) | instid1(VALU_DEP_1)
	v_cmp_eq_u32_e64 s0, v2, v15
	s_and_b32 s1, s1, s0
	s_delay_alu instid0(SALU_CYCLE_1)
	s_and_saveexec_b32 s0, s1
	s_cbranch_execz .LBB16_5
; %bb.31:                               ;   in Loop: Header=BB16_6 Depth=1
	v_lshrrev_b32_e32 v13, 24, v13
	v_lshlrev_b32_e32 v14, 2, v14
	s_delay_alu instid0(VALU_DEP_2) | instskip(NEXT) | instid1(VALU_DEP_2)
	v_add_nc_u32_e32 v13, v12, v13
	v_sub_nc_u32_e32 v12, v12, v14
	s_delay_alu instid0(VALU_DEP_2) | instskip(NEXT) | instid1(VALU_DEP_1)
	v_ashrrev_i32_e32 v13, 8, v13
	v_lshl_add_u32 v12, v13, 2, v12
	s_delay_alu instid0(VALU_DEP_1)
	v_lshl_add_u32 v12, v12, 2, v0
	ds_store_b32 v12, v11
	s_branch .LBB16_5
.LBB16_32:                              ;   in Loop: Header=BB16_6 Depth=1
	v_cmp_eq_f32_e64 s0, v13, v14
	s_waitcnt lgkmcnt(0)
	v_cmp_lt_i32_e64 s1, v15, v12
	s_delay_alu instid0(VALU_DEP_1) | instskip(SKIP_2) | instid1(SALU_CYCLE_1)
	s_and_b32 s0, s0, s1
	s_and_not1_b32 s1, s2, exec_lo
	s_and_b32 s0, s0, exec_lo
	s_or_b32 s2, s1, s0
	s_or_b32 exec_lo, exec_lo, s3
	s_and_saveexec_b32 s0, s2
	s_cbranch_execz .LBB16_28
.LBB16_33:                              ;   in Loop: Header=BB16_6 Depth=1
	s_waitcnt lgkmcnt(0)
	v_dual_mov_b32 v13, v14 :: v_dual_mov_b32 v12, v15
	s_or_b32 exec_lo, exec_lo, s0
	s_and_saveexec_b32 s2, vcc_lo
	s_cbranch_execnz .LBB16_29
	s_branch .LBB16_30
.LBB16_34:
	s_nop 0
	s_sendmsg sendmsg(MSG_DEALLOC_VGPRS)
	s_endpgm
	.section	.rodata,"a",@progbits
	.p2align	6, 0x0
	.amdhsa_kernel _ZN4vllm3moe17topkGatingSoftmaxILi4ELi256ELi4ELi16ELi64EiEEvPKfPKbPfiPT4_Piiii
		.amdhsa_group_segment_fixed_size 4096
		.amdhsa_private_segment_fixed_size 0
		.amdhsa_kernarg_size 60
		.amdhsa_user_sgpr_count 15
		.amdhsa_user_sgpr_dispatch_ptr 1
		.amdhsa_user_sgpr_queue_ptr 0
		.amdhsa_user_sgpr_kernarg_segment_ptr 1
		.amdhsa_user_sgpr_dispatch_id 0
		.amdhsa_user_sgpr_private_segment_size 0
		.amdhsa_wavefront_size32 1
		.amdhsa_uses_dynamic_stack 0
		.amdhsa_enable_private_segment 0
		.amdhsa_system_sgpr_workgroup_id_x 1
		.amdhsa_system_sgpr_workgroup_id_y 0
		.amdhsa_system_sgpr_workgroup_id_z 0
		.amdhsa_system_sgpr_workgroup_info 0
		.amdhsa_system_vgpr_workitem_id 2
		.amdhsa_next_free_vgpr 27
		.amdhsa_next_free_sgpr 16
		.amdhsa_reserve_vcc 1
		.amdhsa_float_round_mode_32 0
		.amdhsa_float_round_mode_16_64 0
		.amdhsa_float_denorm_mode_32 3
		.amdhsa_float_denorm_mode_16_64 3
		.amdhsa_dx10_clamp 1
		.amdhsa_ieee_mode 1
		.amdhsa_fp16_overflow 0
		.amdhsa_workgroup_processor_mode 1
		.amdhsa_memory_ordered 1
		.amdhsa_forward_progress 0
		.amdhsa_shared_vgpr_count 0
		.amdhsa_exception_fp_ieee_invalid_op 0
		.amdhsa_exception_fp_denorm_src 0
		.amdhsa_exception_fp_ieee_div_zero 0
		.amdhsa_exception_fp_ieee_overflow 0
		.amdhsa_exception_fp_ieee_underflow 0
		.amdhsa_exception_fp_ieee_inexact 0
		.amdhsa_exception_int_div_zero 0
	.end_amdhsa_kernel
	.section	.text._ZN4vllm3moe17topkGatingSoftmaxILi4ELi256ELi4ELi16ELi64EiEEvPKfPKbPfiPT4_Piiii,"axG",@progbits,_ZN4vllm3moe17topkGatingSoftmaxILi4ELi256ELi4ELi16ELi64EiEEvPKfPKbPfiPT4_Piiii,comdat
.Lfunc_end16:
	.size	_ZN4vllm3moe17topkGatingSoftmaxILi4ELi256ELi4ELi16ELi64EiEEvPKfPKbPfiPT4_Piiii, .Lfunc_end16-_ZN4vllm3moe17topkGatingSoftmaxILi4ELi256ELi4ELi16ELi64EiEEvPKfPKbPfiPT4_Piiii
                                        ; -- End function
	.section	.AMDGPU.csdata,"",@progbits
; Kernel info:
; codeLenInByte = 2420
; NumSgprs: 18
; NumVgprs: 27
; ScratchSize: 0
; MemoryBound: 0
; FloatMode: 240
; IeeeMode: 1
; LDSByteSize: 4096 bytes/workgroup (compile time only)
; SGPRBlocks: 2
; VGPRBlocks: 3
; NumSGPRsForWavesPerEU: 18
; NumVGPRsForWavesPerEU: 27
; Occupancy: 16
; WaveLimiterHint : 0
; COMPUTE_PGM_RSRC2:SCRATCH_EN: 0
; COMPUTE_PGM_RSRC2:USER_SGPR: 15
; COMPUTE_PGM_RSRC2:TRAP_HANDLER: 0
; COMPUTE_PGM_RSRC2:TGID_X_EN: 1
; COMPUTE_PGM_RSRC2:TGID_Y_EN: 0
; COMPUTE_PGM_RSRC2:TGID_Z_EN: 0
; COMPUTE_PGM_RSRC2:TIDIG_COMP_CNT: 2
	.section	.text._ZN4vllm3moe17topkGatingSoftmaxILi8ELi256ELi4ELi16ELi32EiEEvPKfPKbPfiPT4_Piiii,"axG",@progbits,_ZN4vllm3moe17topkGatingSoftmaxILi8ELi256ELi4ELi16ELi32EiEEvPKfPKbPfiPT4_Piiii,comdat
	.protected	_ZN4vllm3moe17topkGatingSoftmaxILi8ELi256ELi4ELi16ELi32EiEEvPKfPKbPfiPT4_Piiii ; -- Begin function _ZN4vllm3moe17topkGatingSoftmaxILi8ELi256ELi4ELi16ELi32EiEEvPKfPKbPfiPT4_Piiii
	.globl	_ZN4vllm3moe17topkGatingSoftmaxILi8ELi256ELi4ELi16ELi32EiEEvPKfPKbPfiPT4_Piiii
	.p2align	8
	.type	_ZN4vllm3moe17topkGatingSoftmaxILi8ELi256ELi4ELi16ELi32EiEEvPKfPKbPfiPT4_Piiii,@function
_ZN4vllm3moe17topkGatingSoftmaxILi8ELi256ELi4ELi16ELi32EiEEvPKfPKbPfiPT4_Piiii: ; @_ZN4vllm3moe17topkGatingSoftmaxILi8ELi256ELi4ELi16ELi32EiEEvPKfPKbPfiPT4_Piiii
; %bb.0:
	s_load_b32 s14, s[2:3], 0x18
	v_and_b32_e32 v8, 0x3ff, v0
	v_bfe_u32 v9, v0, 10, 10
	s_lshl_b32 s4, s15, 2
	s_delay_alu instid0(VALU_DEP_2) | instskip(NEXT) | instid1(VALU_DEP_1)
	v_lshrrev_b32_e32 v1, 5, v8
	v_add3_u32 v1, s4, v9, v1
	s_mov_b32 s4, exec_lo
	s_waitcnt lgkmcnt(0)
	s_delay_alu instid0(VALU_DEP_1)
	v_cmpx_gt_i32_e64 s14, v1
	s_cbranch_execz .LBB17_30
; %bb.1:
	s_clause 0x1
	s_load_b128 s[4:7], s[2:3], 0x0
	s_load_b64 s[12:13], s[2:3], 0x10
	s_mov_b32 s15, -1
	s_waitcnt lgkmcnt(0)
	s_cmp_eq_u64 s[6:7], 0
	s_cbranch_scc1 .LBB17_3
; %bb.2:
	v_ashrrev_i32_e32 v3, 31, v1
	v_add_co_u32 v2, vcc_lo, s6, v1
	s_delay_alu instid0(VALU_DEP_2) | instskip(SKIP_3) | instid1(VALU_DEP_1)
	v_add_co_ci_u32_e32 v3, vcc_lo, s7, v3, vcc_lo
	global_load_u8 v2, v[2:3], off
	s_waitcnt vmcnt(0)
	v_and_b32_e32 v2, 1, v2
	v_cmp_eq_u32_e32 vcc_lo, 1, v2
	s_xor_b32 s6, vcc_lo, -1
	s_delay_alu instid0(SALU_CYCLE_1)
	s_or_not1_b32 s15, s6, exec_lo
.LBB17_3:
	v_lshlrev_b32_e32 v3, 8, v1
	v_and_b32_e32 v2, 31, v8
	v_mbcnt_lo_u32_b32 v7, -1, 0
	s_load_b64 s[0:1], s[0:1], 0x4
	v_bfe_u32 v0, v0, 20, 10
	v_ashrrev_i32_e32 v4, 31, v3
	v_lshlrev_b32_e32 v5, 4, v2
	v_xor_b32_e32 v6, 8, v7
	s_delay_alu instid0(VALU_DEP_3) | instskip(NEXT) | instid1(VALU_DEP_1)
	v_lshlrev_b64 v[3:4], 2, v[3:4]
	v_add_co_u32 v3, vcc_lo, s4, v3
	s_delay_alu instid0(VALU_DEP_2) | instskip(SKIP_1) | instid1(VALU_DEP_2)
	v_add_co_ci_u32_e32 v4, vcc_lo, s5, v4, vcc_lo
	s_load_b128 s[4:7], s[2:3], 0x30
	v_add_co_u32 v3, vcc_lo, v3, v5
	s_delay_alu instid0(VALU_DEP_2)
	v_add_co_ci_u32_e32 v4, vcc_lo, 0, v4, vcc_lo
	s_waitcnt lgkmcnt(0)
	v_mul_u32_u24_e32 v9, s1, v9
	s_lshr_b32 s0, s0, 16
	s_mov_b32 s7, 0
	s_clause 0x1
	global_load_b128 v[10:13], v[3:4], off
	global_load_b128 v[14:17], v[3:4], off offset:512
	s_mul_i32 s0, s0, s1
	s_delay_alu instid0(SALU_CYCLE_1) | instskip(NEXT) | instid1(VALU_DEP_1)
	v_mad_u32_u24 v8, s0, v8, v9
	v_add_lshl_u32 v0, v8, v0, 5
	s_cmp_lt_i32 s4, 1
	s_waitcnt vmcnt(1)
	v_dual_max_f32 v3, v11, v11 :: v_dual_max_f32 v4, v10, v10
	s_delay_alu instid0(VALU_DEP_1) | instskip(SKIP_1) | instid1(VALU_DEP_1)
	v_max_f32_e32 v3, v4, v3
	v_xor_b32_e32 v4, 16, v7
	v_cmp_gt_i32_e32 vcc_lo, 32, v4
	v_cndmask_b32_e32 v4, v7, v4, vcc_lo
	v_cmp_gt_i32_e32 vcc_lo, 32, v6
	v_cndmask_b32_e32 v6, v7, v6, vcc_lo
	v_max3_f32 v3, v3, v12, v13
	s_waitcnt vmcnt(0)
	s_delay_alu instid0(VALU_DEP_1) | instskip(NEXT) | instid1(VALU_DEP_1)
	v_max3_f32 v5, v3, v14, v15
	v_max3_f32 v5, v5, v16, v17
	v_lshlrev_b32_e32 v3, 2, v4
	ds_bpermute_b32 v4, v3, v5
	s_waitcnt lgkmcnt(0)
	v_max_f32_e32 v18, v4, v4
	v_lshlrev_b32_e32 v4, 2, v6
	s_delay_alu instid0(VALU_DEP_2)
	v_max_f32_e32 v6, v5, v18
	v_xor_b32_e32 v18, 4, v7
	ds_bpermute_b32 v5, v4, v6
	v_cmp_gt_i32_e32 vcc_lo, 32, v18
	s_waitcnt lgkmcnt(0)
	v_dual_cndmask_b32 v18, v7, v18 :: v_dual_max_f32 v19, v5, v5
	s_delay_alu instid0(VALU_DEP_1)
	v_dual_max_f32 v18, v6, v19 :: v_dual_lshlrev_b32 v5, 2, v18
	v_xor_b32_e32 v19, 2, v7
	ds_bpermute_b32 v6, v5, v18
	v_cmp_gt_i32_e32 vcc_lo, 32, v19
	s_waitcnt lgkmcnt(0)
	v_dual_cndmask_b32 v19, v7, v19 :: v_dual_max_f32 v20, v6, v6
	s_delay_alu instid0(VALU_DEP_1) | instskip(SKIP_1) | instid1(VALU_DEP_1)
	v_max_f32_e32 v18, v18, v20
	v_xor_b32_e32 v20, 1, v7
	v_cmp_gt_i32_e32 vcc_lo, 32, v20
	s_delay_alu instid0(VALU_DEP_4) | instskip(SKIP_4) | instid1(VALU_DEP_1)
	v_dual_cndmask_b32 v7, v7, v20 :: v_dual_lshlrev_b32 v6, 2, v19
	ds_bpermute_b32 v19, v6, v18
	v_lshlrev_b32_e32 v7, 2, v7
	s_waitcnt lgkmcnt(0)
	v_max_f32_e32 v19, v19, v19
	v_max_f32_e32 v18, v18, v19
	ds_bpermute_b32 v19, v7, v18
	s_waitcnt lgkmcnt(0)
	v_max_f32_e32 v19, v19, v19
	s_delay_alu instid0(VALU_DEP_1) | instskip(NEXT) | instid1(VALU_DEP_1)
	v_max_f32_e32 v18, v18, v19
	v_sub_f32_e32 v17, v17, v18
	s_delay_alu instid0(VALU_DEP_1)
	v_mul_f32_e32 v25, 0x3fb8aa3b, v17
	v_sub_f32_e32 v15, v15, v18
	v_sub_f32_e32 v12, v12, v18
	;; [unrolled: 1-line block ×4, first 2 shown]
	v_rndne_f32_e32 v41, v25
	v_mul_f32_e32 v23, 0x3fb8aa3b, v15
	v_dual_sub_f32 v11, v11, v18 :: v_dual_mul_f32 v20, 0x3fb8aa3b, v12
	v_sub_f32_e32 v10, v10, v18
	v_mul_f32_e32 v24, 0x3fb8aa3b, v16
	s_delay_alu instid0(VALU_DEP_4) | instskip(NEXT) | instid1(VALU_DEP_4)
	v_rndne_f32_e32 v37, v23
	v_mul_f32_e32 v19, 0x3fb8aa3b, v11
	v_mul_f32_e32 v21, 0x3fb8aa3b, v13
	v_fma_f32 v30, 0x3fb8aa3b, v12, -v20
	v_rndne_f32_e32 v31, v20
	v_cmp_ngt_f32_e32 vcc_lo, 0xc2ce8ed0, v10
	v_fma_f32 v28, 0x3fb8aa3b, v11, -v19
	v_rndne_f32_e32 v29, v19
	v_sub_f32_e32 v14, v14, v18
	v_mul_f32_e32 v18, 0x3fb8aa3b, v10
	v_fma_f32 v32, 0x3fb8aa3b, v13, -v21
	v_fmac_f32_e32 v28, 0x32a5705f, v11
	v_fma_f32 v40, 0x3fb8aa3b, v17, -v25
	v_dual_sub_f32 v19, v19, v29 :: v_dual_mul_f32 v22, 0x3fb8aa3b, v14
	v_sub_f32_e32 v25, v25, v41
	v_fma_f32 v26, 0x3fb8aa3b, v10, -v18
	v_rndne_f32_e32 v27, v18
	v_fmac_f32_e32 v40, 0x32a5705f, v17
	v_fma_f32 v34, 0x3fb8aa3b, v14, -v22
	s_delay_alu instid0(VALU_DEP_4) | instskip(NEXT) | instid1(VALU_DEP_3)
	v_dual_add_f32 v19, v19, v28 :: v_dual_fmac_f32 v26, 0x32a5705f, v10
	v_dual_sub_f32 v18, v18, v27 :: v_dual_add_f32 v25, v25, v40
	s_delay_alu instid0(VALU_DEP_3) | instskip(SKIP_2) | instid1(VALU_DEP_4)
	v_fmac_f32_e32 v34, 0x32a5705f, v14
	v_fma_f32 v36, 0x3fb8aa3b, v15, -v23
	v_cvt_i32_f32_e32 v27, v27
	v_add_f32_e32 v18, v18, v26
	v_exp_f32_e32 v25, v25
	v_exp_f32_e32 v19, v19
	v_cvt_i32_f32_e32 v28, v41
	v_rndne_f32_e32 v33, v21
	v_exp_f32_e32 v18, v18
	v_cvt_i32_f32_e32 v29, v29
	v_sub_f32_e32 v23, v23, v37
	v_rndne_f32_e32 v35, v22
	v_sub_f32_e32 v21, v21, v33
	v_cvt_i32_f32_e32 v33, v33
	v_ldexp_f32 v25, v25, v28
	v_fmac_f32_e32 v36, 0x32a5705f, v15
	v_fmac_f32_e32 v32, 0x32a5705f, v13
	v_ldexp_f32 v19, v19, v29
	v_ldexp_f32 v18, v18, v27
	v_fma_f32 v38, 0x3fb8aa3b, v16, -v24
	v_dual_add_f32 v23, v23, v36 :: v_dual_sub_f32 v20, v20, v31
	s_delay_alu instid0(VALU_DEP_3) | instskip(SKIP_3) | instid1(VALU_DEP_4)
	v_dual_add_f32 v21, v21, v32 :: v_dual_cndmask_b32 v18, 0, v18
	v_cmp_ngt_f32_e32 vcc_lo, 0xc2ce8ed0, v11
	v_fmac_f32_e32 v30, 0x32a5705f, v12
	v_cvt_i32_f32_e32 v31, v31
	v_exp_f32_e32 v21, v21
	v_rndne_f32_e32 v39, v24
	s_delay_alu instid0(VALU_DEP_3) | instskip(SKIP_2) | instid1(VALU_DEP_3)
	v_dual_cndmask_b32 v19, 0, v19 :: v_dual_add_f32 v20, v20, v30
	v_cmp_ngt_f32_e32 vcc_lo, 0xc2ce8ed0, v12
	v_exp_f32_e32 v23, v23
	v_sub_f32_e32 v24, v24, v39
	v_cvt_i32_f32_e32 v37, v37
	v_exp_f32_e32 v20, v20
	v_cvt_i32_f32_e32 v26, v39
	s_delay_alu instid0(TRANS32_DEP_3) | instskip(SKIP_3) | instid1(VALU_DEP_1)
	v_ldexp_f32 v21, v21, v33
	s_waitcnt_depctr 0xfff
	v_ldexp_f32 v23, v23, v37
	v_ldexp_f32 v20, v20, v31
	v_cndmask_b32_e32 v20, 0, v20, vcc_lo
	v_cmp_nlt_f32_e32 vcc_lo, 0x42b17218, v10
	v_cndmask_b32_e32 v10, 0x7f800000, v18, vcc_lo
	v_cmp_nlt_f32_e32 vcc_lo, 0x42b17218, v11
	v_cndmask_b32_e32 v11, 0x7f800000, v19, vcc_lo
	v_cmp_ngt_f32_e32 vcc_lo, 0xc2ce8ed0, v13
	s_delay_alu instid0(VALU_DEP_2)
	v_dual_fmac_f32 v38, 0x32a5705f, v16 :: v_dual_add_f32 v19, v10, v11
	v_cndmask_b32_e32 v18, 0, v21, vcc_lo
	v_sub_f32_e32 v22, v22, v35
	v_cvt_i32_f32_e32 v35, v35
	v_cmp_nlt_f32_e32 vcc_lo, 0x42b17218, v12
	v_add_f32_e32 v24, v24, v38
	s_delay_alu instid0(VALU_DEP_4) | instskip(SKIP_2) | instid1(VALU_DEP_4)
	v_add_f32_e32 v22, v22, v34
	v_cndmask_b32_e32 v12, 0x7f800000, v20, vcc_lo
	v_cmp_ngt_f32_e32 vcc_lo, 0xc2ce8ed0, v14
	v_exp_f32_e32 v24, v24
	s_delay_alu instid0(VALU_DEP_3) | instskip(SKIP_3) | instid1(VALU_DEP_1)
	v_exp_f32_e32 v22, v22
	s_waitcnt_depctr 0xfff
	v_ldexp_f32 v24, v24, v26
	v_ldexp_f32 v22, v22, v35
	v_cndmask_b32_e32 v20, 0, v22, vcc_lo
	v_cmp_nlt_f32_e32 vcc_lo, 0x42b17218, v13
	v_cndmask_b32_e32 v13, 0x7f800000, v18, vcc_lo
	v_cmp_ngt_f32_e32 vcc_lo, 0xc2ce8ed0, v15
	v_dual_add_f32 v18, v19, v12 :: v_dual_cndmask_b32 v19, 0, v23
	v_cmp_nlt_f32_e32 vcc_lo, 0x42b17218, v14
	s_delay_alu instid0(VALU_DEP_2) | instskip(SKIP_2) | instid1(VALU_DEP_2)
	v_add_f32_e32 v18, v18, v13
	v_cndmask_b32_e32 v14, 0x7f800000, v20, vcc_lo
	v_cmp_ngt_f32_e32 vcc_lo, 0xc2ce8ed0, v16
	v_add_f32_e32 v18, v18, v14
	v_cndmask_b32_e32 v20, 0, v24, vcc_lo
	v_cmp_nlt_f32_e32 vcc_lo, 0x42b17218, v15
	v_cndmask_b32_e32 v15, 0x7f800000, v19, vcc_lo
	v_cmp_ngt_f32_e32 vcc_lo, 0xc2ce8ed0, v17
	s_delay_alu instid0(VALU_DEP_2) | instskip(SKIP_3) | instid1(VALU_DEP_2)
	v_dual_add_f32 v18, v18, v15 :: v_dual_cndmask_b32 v19, 0, v25
	v_cmp_nlt_f32_e32 vcc_lo, 0x42b17218, v16
	v_cndmask_b32_e32 v16, 0x7f800000, v20, vcc_lo
	v_cmp_nlt_f32_e32 vcc_lo, 0x42b17218, v17
	v_dual_add_f32 v18, v18, v16 :: v_dual_cndmask_b32 v17, 0x7f800000, v19
	s_delay_alu instid0(VALU_DEP_1)
	v_add_f32_e32 v18, v18, v17
	ds_bpermute_b32 v19, v3, v18
	s_waitcnt lgkmcnt(0)
	v_add_f32_e32 v18, v18, v19
	ds_bpermute_b32 v19, v4, v18
	s_waitcnt lgkmcnt(0)
	;; [unrolled: 3-line block ×5, first 2 shown]
	v_add_f32_e32 v18, v18, v19
	s_delay_alu instid0(VALU_DEP_1) | instskip(SKIP_1) | instid1(VALU_DEP_2)
	v_div_scale_f32 v19, null, v18, v18, 1.0
	v_div_scale_f32 v22, vcc_lo, 1.0, v18, 1.0
	v_rcp_f32_e32 v20, v19
	s_waitcnt_depctr 0xfff
	v_fma_f32 v21, -v19, v20, 1.0
	s_delay_alu instid0(VALU_DEP_1) | instskip(NEXT) | instid1(VALU_DEP_1)
	v_fmac_f32_e32 v20, v21, v20
	v_mul_f32_e32 v21, v22, v20
	s_delay_alu instid0(VALU_DEP_1) | instskip(NEXT) | instid1(VALU_DEP_1)
	v_fma_f32 v23, -v19, v21, v22
	v_fmac_f32_e32 v21, v23, v20
	s_delay_alu instid0(VALU_DEP_1) | instskip(NEXT) | instid1(VALU_DEP_1)
	v_fma_f32 v19, -v19, v21, v22
	v_div_fmas_f32 v19, v19, v20, v21
	s_delay_alu instid0(VALU_DEP_1) | instskip(NEXT) | instid1(VALU_DEP_1)
	v_div_fixup_f32 v18, v19, v18, 1.0
	v_mul_f32_e32 v9, v18, v11
	v_mul_f32_e32 v11, v18, v13
	;; [unrolled: 1-line block ×8, first 2 shown]
	ds_store_b128 v0, v[8:11]
	ds_store_b128 v0, v[12:15] offset:16
	s_cbranch_scc1 .LBB17_30
; %bb.4:
	s_load_b128 s[8:11], s[2:3], 0x20
	v_mul_lo_u32 v8, v1, s4
	v_dual_mov_b32 v10, 0xc61c4000 :: v_dual_lshlrev_b32 v9, 2, v2
	v_cmp_eq_u32_e32 vcc_lo, 0, v2
	s_branch .LBB17_6
.LBB17_5:                               ;   in Loop: Header=BB17_6 Depth=1
	s_or_b32 exec_lo, exec_lo, s0
	v_add_nc_u32_e32 v1, s14, v1
	s_cmp_lg_u32 s4, s7
	s_cbranch_scc0 .LBB17_30
.LBB17_6:                               ; =>This Inner Loop Header: Depth=1
	ds_load_b128 v[11:14], v0
	ds_load_b128 v[15:18], v0 offset:16
	s_mov_b32 s3, exec_lo
	s_waitcnt lgkmcnt(0)
	v_cmp_gt_f32_e64 s0, v12, v11
	s_delay_alu instid0(VALU_DEP_1) | instskip(SKIP_1) | instid1(VALU_DEP_2)
	v_cndmask_b32_e64 v11, v11, v12, s0
	v_cndmask_b32_e64 v12, 0, 1, s0
	v_cmp_gt_f32_e64 s0, v13, v11
	s_delay_alu instid0(VALU_DEP_1) | instskip(NEXT) | instid1(VALU_DEP_3)
	v_cndmask_b32_e64 v11, v11, v13, s0
	v_cndmask_b32_e64 v12, v12, 2, s0
	s_delay_alu instid0(VALU_DEP_2) | instskip(NEXT) | instid1(VALU_DEP_1)
	v_cmp_gt_f32_e64 s0, v14, v11
	v_cndmask_b32_e64 v11, v11, v14, s0
	s_delay_alu instid0(VALU_DEP_3) | instskip(NEXT) | instid1(VALU_DEP_2)
	v_cndmask_b32_e64 v12, v12, 3, s0
	v_cmp_gt_f32_e64 s0, v15, v11
	s_delay_alu instid0(VALU_DEP_1) | instskip(NEXT) | instid1(VALU_DEP_3)
	v_cndmask_b32_e64 v11, v11, v15, s0
	v_cndmask_b32_e64 v12, v12, 0x80, s0
	s_delay_alu instid0(VALU_DEP_2) | instskip(NEXT) | instid1(VALU_DEP_1)
	v_cmp_gt_f32_e64 s0, v16, v11
	v_cndmask_b32_e64 v11, v11, v16, s0
	s_delay_alu instid0(VALU_DEP_3) | instskip(NEXT) | instid1(VALU_DEP_2)
	v_cndmask_b32_e64 v12, v12, 0x81, s0
	v_cmp_gt_f32_e64 s0, v17, v11
	s_delay_alu instid0(VALU_DEP_1) | instskip(NEXT) | instid1(VALU_DEP_3)
	v_cndmask_b32_e64 v11, v11, v17, s0
	v_cndmask_b32_e64 v13, v12, 0x82, s0
	s_delay_alu instid0(VALU_DEP_2) | instskip(NEXT) | instid1(VALU_DEP_1)
	v_cmp_gt_f32_e64 s0, v18, v11
	v_cndmask_b32_e64 v12, v11, v18, s0
	s_delay_alu instid0(VALU_DEP_3)
	v_cndmask_b32_e64 v11, v13, 0x83, s0
	ds_bpermute_b32 v13, v3, v12
	v_or_b32_e32 v11, v9, v11
	ds_bpermute_b32 v14, v3, v11
	s_waitcnt lgkmcnt(1)
	v_cmp_lt_f32_e64 s2, v12, v13
	v_cmpx_nlt_f32_e32 v12, v13
	s_cbranch_execz .LBB17_8
; %bb.7:                                ;   in Loop: Header=BB17_6 Depth=1
	v_cmp_eq_f32_e64 s0, v12, v13
	s_waitcnt lgkmcnt(0)
	v_cmp_lt_i32_e64 s1, v14, v11
	s_delay_alu instid0(VALU_DEP_1) | instskip(SKIP_2) | instid1(SALU_CYCLE_1)
	s_and_b32 s0, s0, s1
	s_and_not1_b32 s1, s2, exec_lo
	s_and_b32 s0, s0, exec_lo
	s_or_b32 s2, s1, s0
.LBB17_8:                               ;   in Loop: Header=BB17_6 Depth=1
	s_or_b32 exec_lo, exec_lo, s3
	s_delay_alu instid0(VALU_DEP_2)
	s_and_saveexec_b32 s0, s2
	s_cbranch_execz .LBB17_10
; %bb.9:                                ;   in Loop: Header=BB17_6 Depth=1
	s_waitcnt lgkmcnt(0)
	v_dual_mov_b32 v12, v13 :: v_dual_mov_b32 v11, v14
.LBB17_10:                              ;   in Loop: Header=BB17_6 Depth=1
	s_or_b32 exec_lo, exec_lo, s0
	s_waitcnt lgkmcnt(0)
	ds_bpermute_b32 v14, v4, v12
	ds_bpermute_b32 v13, v4, v11
	s_mov_b32 s3, exec_lo
	s_waitcnt lgkmcnt(1)
	v_cmp_lt_f32_e64 s2, v12, v14
	v_cmpx_nlt_f32_e32 v12, v14
	s_cbranch_execz .LBB17_12
; %bb.11:                               ;   in Loop: Header=BB17_6 Depth=1
	v_cmp_eq_f32_e64 s0, v12, v14
	s_waitcnt lgkmcnt(0)
	v_cmp_lt_i32_e64 s1, v13, v11
	s_delay_alu instid0(VALU_DEP_1) | instskip(SKIP_2) | instid1(SALU_CYCLE_1)
	s_and_b32 s0, s0, s1
	s_and_not1_b32 s1, s2, exec_lo
	s_and_b32 s0, s0, exec_lo
	s_or_b32 s2, s1, s0
.LBB17_12:                              ;   in Loop: Header=BB17_6 Depth=1
	s_or_b32 exec_lo, exec_lo, s3
	s_delay_alu instid0(VALU_DEP_2)
	s_and_saveexec_b32 s0, s2
	s_cbranch_execz .LBB17_14
; %bb.13:                               ;   in Loop: Header=BB17_6 Depth=1
	s_waitcnt lgkmcnt(0)
	v_dual_mov_b32 v12, v14 :: v_dual_mov_b32 v11, v13
.LBB17_14:                              ;   in Loop: Header=BB17_6 Depth=1
	s_or_b32 exec_lo, exec_lo, s0
	ds_bpermute_b32 v14, v5, v12
	s_waitcnt lgkmcnt(1)
	ds_bpermute_b32 v13, v5, v11
	s_mov_b32 s3, exec_lo
	s_waitcnt lgkmcnt(1)
	v_cmp_lt_f32_e64 s2, v12, v14
	v_cmpx_nlt_f32_e32 v12, v14
	s_cbranch_execz .LBB17_16
; %bb.15:                               ;   in Loop: Header=BB17_6 Depth=1
	v_cmp_eq_f32_e64 s0, v12, v14
	s_waitcnt lgkmcnt(0)
	v_cmp_lt_i32_e64 s1, v13, v11
	s_delay_alu instid0(VALU_DEP_1) | instskip(SKIP_2) | instid1(SALU_CYCLE_1)
	s_and_b32 s0, s0, s1
	s_and_not1_b32 s1, s2, exec_lo
	s_and_b32 s0, s0, exec_lo
	s_or_b32 s2, s1, s0
.LBB17_16:                              ;   in Loop: Header=BB17_6 Depth=1
	s_or_b32 exec_lo, exec_lo, s3
	s_delay_alu instid0(VALU_DEP_2)
	s_and_saveexec_b32 s0, s2
	s_cbranch_execz .LBB17_18
; %bb.17:                               ;   in Loop: Header=BB17_6 Depth=1
	s_waitcnt lgkmcnt(0)
	v_dual_mov_b32 v12, v14 :: v_dual_mov_b32 v11, v13
.LBB17_18:                              ;   in Loop: Header=BB17_6 Depth=1
	s_or_b32 exec_lo, exec_lo, s0
	ds_bpermute_b32 v14, v6, v12
	s_waitcnt lgkmcnt(1)
	ds_bpermute_b32 v13, v6, v11
	s_mov_b32 s3, exec_lo
	s_waitcnt lgkmcnt(1)
	v_cmp_lt_f32_e64 s2, v12, v14
	v_cmpx_nlt_f32_e32 v12, v14
	s_cbranch_execz .LBB17_20
; %bb.19:                               ;   in Loop: Header=BB17_6 Depth=1
	v_cmp_eq_f32_e64 s0, v12, v14
	s_waitcnt lgkmcnt(0)
	v_cmp_lt_i32_e64 s1, v13, v11
	s_delay_alu instid0(VALU_DEP_1) | instskip(SKIP_2) | instid1(SALU_CYCLE_1)
	s_and_b32 s0, s0, s1
	s_and_not1_b32 s1, s2, exec_lo
	s_and_b32 s0, s0, exec_lo
	s_or_b32 s2, s1, s0
.LBB17_20:                              ;   in Loop: Header=BB17_6 Depth=1
	s_or_b32 exec_lo, exec_lo, s3
	s_delay_alu instid0(VALU_DEP_2)
	s_and_saveexec_b32 s0, s2
	s_cbranch_execz .LBB17_22
; %bb.21:                               ;   in Loop: Header=BB17_6 Depth=1
	s_waitcnt lgkmcnt(0)
	v_dual_mov_b32 v12, v14 :: v_dual_mov_b32 v11, v13
.LBB17_22:                              ;   in Loop: Header=BB17_6 Depth=1
	s_or_b32 exec_lo, exec_lo, s0
	s_waitcnt lgkmcnt(0)
	ds_bpermute_b32 v13, v7, v12
	ds_bpermute_b32 v14, v7, v11
	s_mov_b32 s3, exec_lo
	s_waitcnt lgkmcnt(1)
	v_cmp_lt_f32_e64 s2, v12, v13
	v_cmpx_nlt_f32_e32 v12, v13
	s_cbranch_execnz .LBB17_28
; %bb.23:                               ;   in Loop: Header=BB17_6 Depth=1
	s_or_b32 exec_lo, exec_lo, s3
	s_delay_alu instid0(VALU_DEP_2)
	s_and_saveexec_b32 s0, s2
	s_cbranch_execnz .LBB17_29
.LBB17_24:                              ;   in Loop: Header=BB17_6 Depth=1
	s_or_b32 exec_lo, exec_lo, s0
	s_and_saveexec_b32 s2, vcc_lo
	s_cbranch_execz .LBB17_26
.LBB17_25:                              ;   in Loop: Header=BB17_6 Depth=1
	v_add_nc_u32_e32 v13, s7, v8
	v_cmp_le_i32_e64 s0, s5, v11
	v_cmp_gt_i32_e64 s1, s6, v11
	v_subrev_nc_u32_e32 v15, s5, v11
	s_waitcnt lgkmcnt(0)
	v_ashrrev_i32_e32 v14, 31, v13
	s_delay_alu instid0(VALU_DEP_3) | instskip(NEXT) | instid1(SALU_CYCLE_1)
	s_and_b32 s0, s0, s1
	s_and_b32 s0, s15, s0
	s_delay_alu instid0(VALU_DEP_1) | instskip(SKIP_1) | instid1(VALU_DEP_2)
	v_lshlrev_b64 v[13:14], 2, v[13:14]
	v_cndmask_b32_e64 v19, 0x100, v15, s0
	v_add_co_u32 v15, s0, s12, v13
	s_delay_alu instid0(VALU_DEP_1) | instskip(SKIP_1) | instid1(VALU_DEP_1)
	v_add_co_ci_u32_e64 v16, s0, s13, v14, s0
	v_add_co_u32 v17, s0, s8, v13
	v_add_co_ci_u32_e64 v18, s0, s9, v14, s0
	v_add_co_u32 v13, s0, s10, v13
	s_delay_alu instid0(VALU_DEP_1)
	v_add_co_ci_u32_e64 v14, s0, s11, v14, s0
	global_store_b32 v[15:16], v12, off
	global_store_b32 v[17:18], v19, off
	;; [unrolled: 1-line block ×3, first 2 shown]
.LBB17_26:                              ;   in Loop: Header=BB17_6 Depth=1
	s_or_b32 exec_lo, exec_lo, s2
	v_ashrrev_i32_e32 v12, 31, v11
	s_add_i32 s7, s7, 1
	s_delay_alu instid0(SALU_CYCLE_1) | instskip(SKIP_1) | instid1(VALU_DEP_1)
	s_cmp_lt_i32 s7, s4
	s_cselect_b32 s1, -1, 0
	v_lshrrev_b32_e32 v13, 30, v12
	s_delay_alu instid0(VALU_DEP_1) | instskip(SKIP_1) | instid1(VALU_DEP_1)
	v_add_nc_u32_e32 v13, v11, v13
	s_waitcnt lgkmcnt(0)
	v_ashrrev_i32_e32 v14, 31, v13
	v_ashrrev_i32_e32 v13, 2, v13
	s_delay_alu instid0(VALU_DEP_2) | instskip(NEXT) | instid1(VALU_DEP_1)
	v_lshrrev_b32_e32 v14, 27, v14
	v_add_nc_u32_e32 v14, v13, v14
	s_delay_alu instid0(VALU_DEP_1) | instskip(NEXT) | instid1(VALU_DEP_1)
	v_and_b32_e32 v14, 0xffffffe0, v14
	v_sub_nc_u32_e32 v14, v13, v14
	s_delay_alu instid0(VALU_DEP_1) | instskip(NEXT) | instid1(VALU_DEP_1)
	v_cmp_eq_u32_e64 s0, v2, v14
	s_and_b32 s1, s1, s0
	s_delay_alu instid0(SALU_CYCLE_1)
	s_and_saveexec_b32 s0, s1
	s_cbranch_execz .LBB17_5
; %bb.27:                               ;   in Loop: Header=BB17_6 Depth=1
	v_lshrrev_b32_e32 v12, 25, v12
	v_lshlrev_b32_e32 v13, 2, v13
	s_delay_alu instid0(VALU_DEP_2) | instskip(NEXT) | instid1(VALU_DEP_2)
	v_add_nc_u32_e32 v12, v11, v12
	v_sub_nc_u32_e32 v11, v11, v13
	s_delay_alu instid0(VALU_DEP_2) | instskip(NEXT) | instid1(VALU_DEP_1)
	v_ashrrev_i32_e32 v12, 7, v12
	v_lshl_add_u32 v11, v12, 2, v11
	s_delay_alu instid0(VALU_DEP_1)
	v_lshl_add_u32 v11, v11, 2, v0
	ds_store_b32 v11, v10
	s_branch .LBB17_5
.LBB17_28:                              ;   in Loop: Header=BB17_6 Depth=1
	v_cmp_eq_f32_e64 s0, v12, v13
	s_waitcnt lgkmcnt(0)
	v_cmp_lt_i32_e64 s1, v14, v11
	s_delay_alu instid0(VALU_DEP_1) | instskip(SKIP_2) | instid1(SALU_CYCLE_1)
	s_and_b32 s0, s0, s1
	s_and_not1_b32 s1, s2, exec_lo
	s_and_b32 s0, s0, exec_lo
	s_or_b32 s2, s1, s0
	s_or_b32 exec_lo, exec_lo, s3
	s_and_saveexec_b32 s0, s2
	s_cbranch_execz .LBB17_24
.LBB17_29:                              ;   in Loop: Header=BB17_6 Depth=1
	s_waitcnt lgkmcnt(0)
	v_dual_mov_b32 v12, v13 :: v_dual_mov_b32 v11, v14
	s_or_b32 exec_lo, exec_lo, s0
	s_and_saveexec_b32 s2, vcc_lo
	s_cbranch_execnz .LBB17_25
	s_branch .LBB17_26
.LBB17_30:
	s_nop 0
	s_sendmsg sendmsg(MSG_DEALLOC_VGPRS)
	s_endpgm
	.section	.rodata,"a",@progbits
	.p2align	6, 0x0
	.amdhsa_kernel _ZN4vllm3moe17topkGatingSoftmaxILi8ELi256ELi4ELi16ELi32EiEEvPKfPKbPfiPT4_Piiii
		.amdhsa_group_segment_fixed_size 4096
		.amdhsa_private_segment_fixed_size 0
		.amdhsa_kernarg_size 60
		.amdhsa_user_sgpr_count 15
		.amdhsa_user_sgpr_dispatch_ptr 1
		.amdhsa_user_sgpr_queue_ptr 0
		.amdhsa_user_sgpr_kernarg_segment_ptr 1
		.amdhsa_user_sgpr_dispatch_id 0
		.amdhsa_user_sgpr_private_segment_size 0
		.amdhsa_wavefront_size32 1
		.amdhsa_uses_dynamic_stack 0
		.amdhsa_enable_private_segment 0
		.amdhsa_system_sgpr_workgroup_id_x 1
		.amdhsa_system_sgpr_workgroup_id_y 0
		.amdhsa_system_sgpr_workgroup_id_z 0
		.amdhsa_system_sgpr_workgroup_info 0
		.amdhsa_system_vgpr_workitem_id 2
		.amdhsa_next_free_vgpr 42
		.amdhsa_next_free_sgpr 16
		.amdhsa_reserve_vcc 1
		.amdhsa_float_round_mode_32 0
		.amdhsa_float_round_mode_16_64 0
		.amdhsa_float_denorm_mode_32 3
		.amdhsa_float_denorm_mode_16_64 3
		.amdhsa_dx10_clamp 1
		.amdhsa_ieee_mode 1
		.amdhsa_fp16_overflow 0
		.amdhsa_workgroup_processor_mode 1
		.amdhsa_memory_ordered 1
		.amdhsa_forward_progress 0
		.amdhsa_shared_vgpr_count 0
		.amdhsa_exception_fp_ieee_invalid_op 0
		.amdhsa_exception_fp_denorm_src 0
		.amdhsa_exception_fp_ieee_div_zero 0
		.amdhsa_exception_fp_ieee_overflow 0
		.amdhsa_exception_fp_ieee_underflow 0
		.amdhsa_exception_fp_ieee_inexact 0
		.amdhsa_exception_int_div_zero 0
	.end_amdhsa_kernel
	.section	.text._ZN4vllm3moe17topkGatingSoftmaxILi8ELi256ELi4ELi16ELi32EiEEvPKfPKbPfiPT4_Piiii,"axG",@progbits,_ZN4vllm3moe17topkGatingSoftmaxILi8ELi256ELi4ELi16ELi32EiEEvPKfPKbPfiPT4_Piiii,comdat
.Lfunc_end17:
	.size	_ZN4vllm3moe17topkGatingSoftmaxILi8ELi256ELi4ELi16ELi32EiEEvPKfPKbPfiPT4_Piiii, .Lfunc_end17-_ZN4vllm3moe17topkGatingSoftmaxILi8ELi256ELi4ELi16ELi32EiEEvPKfPKbPfiPT4_Piiii
                                        ; -- End function
	.section	.AMDGPU.csdata,"",@progbits
; Kernel info:
; codeLenInByte = 2820
; NumSgprs: 18
; NumVgprs: 42
; ScratchSize: 0
; MemoryBound: 0
; FloatMode: 240
; IeeeMode: 1
; LDSByteSize: 4096 bytes/workgroup (compile time only)
; SGPRBlocks: 2
; VGPRBlocks: 5
; NumSGPRsForWavesPerEU: 18
; NumVGPRsForWavesPerEU: 42
; Occupancy: 16
; WaveLimiterHint : 0
; COMPUTE_PGM_RSRC2:SCRATCH_EN: 0
; COMPUTE_PGM_RSRC2:USER_SGPR: 15
; COMPUTE_PGM_RSRC2:TRAP_HANDLER: 0
; COMPUTE_PGM_RSRC2:TGID_X_EN: 1
; COMPUTE_PGM_RSRC2:TGID_Y_EN: 0
; COMPUTE_PGM_RSRC2:TGID_Z_EN: 0
; COMPUTE_PGM_RSRC2:TIDIG_COMP_CNT: 2
	.section	.text._ZN4vllm3moe17topkGatingSoftmaxILi8ELi512ELi4ELi16ELi64EiEEvPKfPKbPfiPT4_Piiii,"axG",@progbits,_ZN4vllm3moe17topkGatingSoftmaxILi8ELi512ELi4ELi16ELi64EiEEvPKfPKbPfiPT4_Piiii,comdat
	.protected	_ZN4vllm3moe17topkGatingSoftmaxILi8ELi512ELi4ELi16ELi64EiEEvPKfPKbPfiPT4_Piiii ; -- Begin function _ZN4vllm3moe17topkGatingSoftmaxILi8ELi512ELi4ELi16ELi64EiEEvPKfPKbPfiPT4_Piiii
	.globl	_ZN4vllm3moe17topkGatingSoftmaxILi8ELi512ELi4ELi16ELi64EiEEvPKfPKbPfiPT4_Piiii
	.p2align	8
	.type	_ZN4vllm3moe17topkGatingSoftmaxILi8ELi512ELi4ELi16ELi64EiEEvPKfPKbPfiPT4_Piiii,@function
_ZN4vllm3moe17topkGatingSoftmaxILi8ELi512ELi4ELi16ELi64EiEEvPKfPKbPfiPT4_Piiii: ; @_ZN4vllm3moe17topkGatingSoftmaxILi8ELi512ELi4ELi16ELi64EiEEvPKfPKbPfiPT4_Piiii
; %bb.0:
	s_load_b32 s14, s[2:3], 0x18
	v_and_b32_e32 v10, 0x3ff, v0
	v_bfe_u32 v9, v0, 10, 10
	s_lshl_b32 s4, s15, 2
	s_delay_alu instid0(VALU_DEP_2) | instskip(NEXT) | instid1(VALU_DEP_1)
	v_lshrrev_b32_e32 v1, 6, v10
	v_add3_u32 v1, s4, v9, v1
	s_mov_b32 s4, exec_lo
	s_waitcnt lgkmcnt(0)
	s_delay_alu instid0(VALU_DEP_1)
	v_cmpx_gt_i32_e64 s14, v1
	s_cbranch_execz .LBB18_34
; %bb.1:
	s_clause 0x1
	s_load_b128 s[4:7], s[2:3], 0x0
	s_load_b64 s[12:13], s[2:3], 0x10
	s_mov_b32 s15, -1
	s_waitcnt lgkmcnt(0)
	s_cmp_eq_u64 s[6:7], 0
	s_cbranch_scc1 .LBB18_3
; %bb.2:
	v_ashrrev_i32_e32 v3, 31, v1
	v_add_co_u32 v2, vcc_lo, s6, v1
	s_delay_alu instid0(VALU_DEP_2) | instskip(SKIP_3) | instid1(VALU_DEP_1)
	v_add_co_ci_u32_e32 v3, vcc_lo, s7, v3, vcc_lo
	global_load_u8 v2, v[2:3], off
	s_waitcnt vmcnt(0)
	v_and_b32_e32 v2, 1, v2
	v_cmp_eq_u32_e32 vcc_lo, 1, v2
	s_xor_b32 s6, vcc_lo, -1
	s_delay_alu instid0(SALU_CYCLE_1)
	s_or_not1_b32 s15, s6, exec_lo
.LBB18_3:
	v_lshlrev_b32_e32 v3, 9, v1
	v_and_b32_e32 v2, 63, v10
	v_mbcnt_lo_u32_b32 v8, -1, 0
	s_load_b64 s[0:1], s[0:1], 0x4
	v_bfe_u32 v0, v0, 20, 10
	v_ashrrev_i32_e32 v4, 31, v3
	v_lshlrev_b32_e32 v5, 4, v2
	v_xor_b32_e32 v6, 16, v8
	s_delay_alu instid0(VALU_DEP_3) | instskip(NEXT) | instid1(VALU_DEP_1)
	v_lshlrev_b64 v[3:4], 2, v[3:4]
	v_add_co_u32 v3, vcc_lo, s4, v3
	s_delay_alu instid0(VALU_DEP_2) | instskip(SKIP_1) | instid1(VALU_DEP_2)
	v_add_co_ci_u32_e32 v4, vcc_lo, s5, v4, vcc_lo
	s_load_b128 s[4:7], s[2:3], 0x30
	v_add_co_u32 v3, vcc_lo, v3, v5
	s_delay_alu instid0(VALU_DEP_2)
	v_add_co_ci_u32_e32 v4, vcc_lo, 0, v4, vcc_lo
	s_waitcnt lgkmcnt(0)
	s_lshr_b32 s0, s0, 16
	s_mov_b32 s7, 0
	s_mul_i32 s0, s0, s1
	s_clause 0x1
	global_load_b128 v[11:14], v[3:4], off
	global_load_b128 v[15:18], v[3:4], off offset:1024
	v_mul_lo_u32 v10, s0, v10
	s_delay_alu instid0(VALU_DEP_1) | instskip(SKIP_1) | instid1(VALU_DEP_1)
	v_mad_u32_u24 v9, v9, s1, v10
	s_cmp_lt_i32 s4, 1
	v_add_lshl_u32 v0, v9, v0, 5
	s_waitcnt vmcnt(1)
	v_dual_max_f32 v3, v12, v12 :: v_dual_max_f32 v4, v11, v11
	s_delay_alu instid0(VALU_DEP_1) | instskip(SKIP_1) | instid1(VALU_DEP_2)
	v_max_f32_e32 v3, v4, v3
	v_or_b32_e32 v4, 32, v8
	v_max3_f32 v3, v3, v13, v14
	s_delay_alu instid0(VALU_DEP_2) | instskip(SKIP_1) | instid1(VALU_DEP_2)
	v_cmp_gt_i32_e32 vcc_lo, 64, v4
	s_waitcnt vmcnt(0)
	v_max3_f32 v5, v3, v15, v16
	v_cndmask_b32_e32 v4, v8, v4, vcc_lo
	v_cmp_gt_i32_e32 vcc_lo, 64, v6
	s_delay_alu instid0(VALU_DEP_3) | instskip(NEXT) | instid1(VALU_DEP_3)
	v_max3_f32 v5, v5, v17, v18
	v_dual_cndmask_b32 v6, v8, v6 :: v_dual_lshlrev_b32 v3, 2, v4
	ds_bpermute_b32 v4, v3, v5
	s_waitcnt lgkmcnt(0)
	v_dual_max_f32 v7, v4, v4 :: v_dual_lshlrev_b32 v4, 2, v6
	s_delay_alu instid0(VALU_DEP_1)
	v_max_f32_e32 v6, v5, v7
	v_xor_b32_e32 v7, 8, v8
	ds_bpermute_b32 v5, v4, v6
	v_cmp_gt_i32_e32 vcc_lo, 64, v7
	v_cndmask_b32_e32 v7, v8, v7, vcc_lo
	s_waitcnt lgkmcnt(0)
	v_max_f32_e32 v19, v5, v5
	s_delay_alu instid0(VALU_DEP_2) | instskip(NEXT) | instid1(VALU_DEP_2)
	v_lshlrev_b32_e32 v5, 2, v7
	v_max_f32_e32 v7, v6, v19
	v_xor_b32_e32 v19, 4, v8
	ds_bpermute_b32 v6, v5, v7
	v_cmp_gt_i32_e32 vcc_lo, 64, v19
	s_waitcnt lgkmcnt(0)
	v_dual_cndmask_b32 v19, v8, v19 :: v_dual_max_f32 v20, v6, v6
	s_delay_alu instid0(VALU_DEP_1)
	v_dual_max_f32 v19, v7, v20 :: v_dual_lshlrev_b32 v6, 2, v19
	v_xor_b32_e32 v20, 2, v8
	ds_bpermute_b32 v7, v6, v19
	v_cmp_gt_i32_e32 vcc_lo, 64, v20
	s_waitcnt lgkmcnt(0)
	v_dual_cndmask_b32 v20, v8, v20 :: v_dual_max_f32 v21, v7, v7
	s_delay_alu instid0(VALU_DEP_1) | instskip(NEXT) | instid1(VALU_DEP_2)
	v_lshlrev_b32_e32 v7, 2, v20
	v_max_f32_e32 v19, v19, v21
	v_xor_b32_e32 v21, 1, v8
	ds_bpermute_b32 v20, v7, v19
	v_cmp_gt_i32_e32 vcc_lo, 64, v21
	v_cndmask_b32_e32 v8, v8, v21, vcc_lo
	s_delay_alu instid0(VALU_DEP_1) | instskip(SKIP_2) | instid1(VALU_DEP_1)
	v_lshlrev_b32_e32 v8, 2, v8
	s_waitcnt lgkmcnt(0)
	v_max_f32_e32 v20, v20, v20
	v_max_f32_e32 v19, v19, v20
	ds_bpermute_b32 v20, v8, v19
	s_waitcnt lgkmcnt(0)
	v_max_f32_e32 v20, v20, v20
	s_delay_alu instid0(VALU_DEP_1) | instskip(NEXT) | instid1(VALU_DEP_1)
	v_max_f32_e32 v19, v19, v20
	v_sub_f32_e32 v18, v18, v19
	s_delay_alu instid0(VALU_DEP_1) | instskip(SKIP_3) | instid1(VALU_DEP_4)
	v_mul_f32_e32 v26, 0x3fb8aa3b, v18
	v_sub_f32_e32 v12, v12, v19
	v_sub_f32_e32 v17, v17, v19
	;; [unrolled: 1-line block ×3, first 2 shown]
	v_rndne_f32_e32 v42, v26
	s_delay_alu instid0(VALU_DEP_3) | instskip(NEXT) | instid1(VALU_DEP_3)
	v_dual_mul_f32 v20, 0x3fb8aa3b, v12 :: v_dual_mul_f32 v25, 0x3fb8aa3b, v17
	v_dual_sub_f32 v11, v11, v19 :: v_dual_mul_f32 v24, 0x3fb8aa3b, v16
	s_delay_alu instid0(VALU_DEP_2) | instskip(SKIP_2) | instid1(VALU_DEP_4)
	v_rndne_f32_e32 v30, v20
	v_sub_f32_e32 v13, v13, v19
	v_fma_f32 v29, 0x3fb8aa3b, v12, -v20
	v_fma_f32 v37, 0x3fb8aa3b, v16, -v24
	v_rndne_f32_e32 v38, v24
	v_sub_f32_e32 v20, v20, v30
	v_dual_sub_f32 v14, v14, v19 :: v_dual_mul_f32 v21, 0x3fb8aa3b, v13
	s_delay_alu instid0(VALU_DEP_3) | instskip(SKIP_1) | instid1(VALU_DEP_3)
	v_dual_fmac_f32 v37, 0x32a5705f, v16 :: v_dual_sub_f32 v24, v24, v38
	v_fmac_f32_e32 v29, 0x32a5705f, v12
	v_mul_f32_e32 v22, 0x3fb8aa3b, v14
	s_delay_alu instid0(VALU_DEP_4)
	v_fma_f32 v31, 0x3fb8aa3b, v13, -v21
	v_rndne_f32_e32 v32, v21
	v_add_f32_e32 v24, v24, v37
	v_cvt_i32_f32_e32 v30, v30
	v_rndne_f32_e32 v34, v22
	v_sub_f32_e32 v15, v15, v19
	v_mul_f32_e32 v19, 0x3fb8aa3b, v11
	v_fma_f32 v33, 0x3fb8aa3b, v14, -v22
	v_add_f32_e32 v20, v20, v29
	s_delay_alu instid0(VALU_DEP_4) | instskip(NEXT) | instid1(VALU_DEP_4)
	v_dual_sub_f32 v22, v22, v34 :: v_dual_mul_f32 v23, 0x3fb8aa3b, v15
	v_fma_f32 v27, 0x3fb8aa3b, v11, -v19
	v_rndne_f32_e32 v28, v19
	v_fmac_f32_e32 v33, 0x32a5705f, v14
	v_exp_f32_e32 v20, v20
	v_cmp_ngt_f32_e32 vcc_lo, 0xc2ce8ed0, v11
	v_fmac_f32_e32 v27, 0x32a5705f, v11
	s_delay_alu instid0(VALU_DEP_3) | instskip(SKIP_2) | instid1(VALU_DEP_3)
	v_dual_sub_f32 v19, v19, v28 :: v_dual_add_f32 v22, v22, v33
	v_cvt_i32_f32_e32 v28, v28
	v_fma_f32 v41, 0x3fb8aa3b, v18, -v26
	v_dual_sub_f32 v26, v26, v42 :: v_dual_add_f32 v19, v19, v27
	s_delay_alu instid0(VALU_DEP_4) | instskip(NEXT) | instid1(TRANS32_DEP_2)
	v_exp_f32_e32 v22, v22
	v_ldexp_f32 v20, v20, v30
	s_delay_alu instid0(VALU_DEP_3)
	v_fmac_f32_e32 v41, 0x32a5705f, v18
	v_sub_f32_e32 v21, v21, v32
	v_exp_f32_e32 v19, v19
	v_cvt_i32_f32_e32 v32, v32
	v_cvt_i32_f32_e32 v34, v34
	v_add_f32_e32 v26, v26, v41
	v_exp_f32_e32 v24, v24
	v_fma_f32 v35, 0x3fb8aa3b, v15, -v23
	v_rndne_f32_e32 v36, v23
	v_cvt_i32_f32_e32 v38, v38
	v_ldexp_f32 v22, v22, v34
	v_fma_f32 v39, 0x3fb8aa3b, v17, -v25
	v_ldexp_f32 v19, v19, v28
	v_rndne_f32_e32 v40, v25
	v_exp_f32_e32 v26, v26
	v_cvt_i32_f32_e32 v29, v42
	v_ldexp_f32 v24, v24, v38
	v_cndmask_b32_e32 v19, 0, v19, vcc_lo
	v_cmp_ngt_f32_e32 vcc_lo, 0xc2ce8ed0, v12
	v_fmac_f32_e32 v31, 0x32a5705f, v13
	v_fmac_f32_e32 v35, 0x32a5705f, v15
	v_sub_f32_e32 v25, v25, v40
	v_cvt_i32_f32_e32 v27, v40
	s_delay_alu instid0(VALU_DEP_4) | instskip(SKIP_2) | instid1(VALU_DEP_3)
	v_dual_cndmask_b32 v20, 0, v20 :: v_dual_add_f32 v21, v21, v31
	v_cmp_ngt_f32_e32 vcc_lo, 0xc2ce8ed0, v13
	v_ldexp_f32 v26, v26, v29
	v_exp_f32_e32 v21, v21
	s_waitcnt_depctr 0xfff
	v_ldexp_f32 v21, v21, v32
	s_delay_alu instid0(VALU_DEP_1)
	v_cndmask_b32_e32 v21, 0, v21, vcc_lo
	v_cmp_nlt_f32_e32 vcc_lo, 0x42b17218, v11
	v_cndmask_b32_e32 v11, 0x7f800000, v19, vcc_lo
	v_cmp_nlt_f32_e32 vcc_lo, 0x42b17218, v12
	v_cndmask_b32_e32 v12, 0x7f800000, v20, vcc_lo
	v_cmp_ngt_f32_e32 vcc_lo, 0xc2ce8ed0, v14
	s_delay_alu instid0(VALU_DEP_2) | instskip(SKIP_4) | instid1(VALU_DEP_3)
	v_dual_fmac_f32 v39, 0x32a5705f, v17 :: v_dual_add_f32 v20, v11, v12
	v_cndmask_b32_e32 v19, 0, v22, vcc_lo
	v_sub_f32_e32 v23, v23, v36
	v_cvt_i32_f32_e32 v36, v36
	v_cmp_nlt_f32_e32 vcc_lo, 0x42b17218, v13
	v_add_f32_e32 v23, v23, v35
	v_cndmask_b32_e32 v13, 0x7f800000, v21, vcc_lo
	v_cmp_ngt_f32_e32 vcc_lo, 0xc2ce8ed0, v15
	s_delay_alu instid0(VALU_DEP_3) | instskip(SKIP_2) | instid1(VALU_DEP_1)
	v_exp_f32_e32 v23, v23
	s_waitcnt_depctr 0xfff
	v_ldexp_f32 v23, v23, v36
	v_cndmask_b32_e32 v21, 0, v23, vcc_lo
	v_cmp_nlt_f32_e32 vcc_lo, 0x42b17218, v14
	v_cndmask_b32_e32 v14, 0x7f800000, v19, vcc_lo
	v_add_f32_e32 v25, v25, v39
	v_cmp_ngt_f32_e32 vcc_lo, 0xc2ce8ed0, v16
	v_add_f32_e32 v19, v20, v13
	s_delay_alu instid0(VALU_DEP_3) | instskip(SKIP_2) | instid1(VALU_DEP_3)
	v_exp_f32_e32 v25, v25
	v_cndmask_b32_e32 v20, 0, v24, vcc_lo
	v_cmp_nlt_f32_e32 vcc_lo, 0x42b17218, v15
	v_add_f32_e32 v19, v19, v14
	v_cndmask_b32_e32 v15, 0x7f800000, v21, vcc_lo
	v_cmp_ngt_f32_e32 vcc_lo, 0xc2ce8ed0, v17
	s_waitcnt_depctr 0xfff
	v_ldexp_f32 v25, v25, v27
	v_add_f32_e32 v19, v19, v15
	s_delay_alu instid0(VALU_DEP_2) | instskip(SKIP_3) | instid1(VALU_DEP_2)
	v_cndmask_b32_e32 v21, 0, v25, vcc_lo
	v_cmp_nlt_f32_e32 vcc_lo, 0x42b17218, v16
	v_cndmask_b32_e32 v16, 0x7f800000, v20, vcc_lo
	v_cmp_ngt_f32_e32 vcc_lo, 0xc2ce8ed0, v18
	v_dual_add_f32 v19, v19, v16 :: v_dual_cndmask_b32 v20, 0, v26
	v_cmp_nlt_f32_e32 vcc_lo, 0x42b17218, v17
	v_cndmask_b32_e32 v17, 0x7f800000, v21, vcc_lo
	v_cmp_nlt_f32_e32 vcc_lo, 0x42b17218, v18
	s_delay_alu instid0(VALU_DEP_2) | instskip(NEXT) | instid1(VALU_DEP_1)
	v_dual_add_f32 v19, v19, v17 :: v_dual_cndmask_b32 v18, 0x7f800000, v20
	v_add_f32_e32 v19, v19, v18
	ds_bpermute_b32 v20, v3, v19
	s_waitcnt lgkmcnt(0)
	v_add_f32_e32 v19, v19, v20
	ds_bpermute_b32 v20, v4, v19
	s_waitcnt lgkmcnt(0)
	;; [unrolled: 3-line block ×6, first 2 shown]
	v_add_f32_e32 v19, v19, v20
	s_delay_alu instid0(VALU_DEP_1) | instskip(SKIP_1) | instid1(VALU_DEP_2)
	v_div_scale_f32 v20, null, v19, v19, 1.0
	v_div_scale_f32 v23, vcc_lo, 1.0, v19, 1.0
	v_rcp_f32_e32 v21, v20
	s_waitcnt_depctr 0xfff
	v_fma_f32 v22, -v20, v21, 1.0
	s_delay_alu instid0(VALU_DEP_1) | instskip(NEXT) | instid1(VALU_DEP_1)
	v_fmac_f32_e32 v21, v22, v21
	v_mul_f32_e32 v22, v23, v21
	s_delay_alu instid0(VALU_DEP_1) | instskip(NEXT) | instid1(VALU_DEP_1)
	v_fma_f32 v24, -v20, v22, v23
	v_fmac_f32_e32 v22, v24, v21
	s_delay_alu instid0(VALU_DEP_1) | instskip(NEXT) | instid1(VALU_DEP_1)
	v_fma_f32 v20, -v20, v22, v23
	v_div_fmas_f32 v20, v20, v21, v22
	s_delay_alu instid0(VALU_DEP_1) | instskip(NEXT) | instid1(VALU_DEP_1)
	v_div_fixup_f32 v19, v20, v19, 1.0
	v_mul_f32_e32 v10, v19, v12
	v_mul_f32_e32 v12, v19, v14
	v_mul_f32_e32 v14, v19, v16
	v_mul_f32_e32 v16, v19, v18
	v_mul_f32_e32 v9, v19, v11
	v_mul_f32_e32 v11, v19, v13
	v_mul_f32_e32 v13, v19, v15
	v_mul_f32_e32 v15, v19, v17
	ds_store_b128 v0, v[9:12]
	ds_store_b128 v0, v[13:16] offset:16
	s_cbranch_scc1 .LBB18_34
; %bb.4:
	s_load_b128 s[8:11], s[2:3], 0x20
	v_mul_lo_u32 v9, v1, s4
	v_dual_mov_b32 v11, 0xc61c4000 :: v_dual_lshlrev_b32 v10, 2, v2
	v_cmp_eq_u32_e32 vcc_lo, 0, v2
	s_branch .LBB18_6
.LBB18_5:                               ;   in Loop: Header=BB18_6 Depth=1
	s_or_b32 exec_lo, exec_lo, s0
	v_add_nc_u32_e32 v1, s14, v1
	s_cmp_lg_u32 s4, s7
	s_cbranch_scc0 .LBB18_34
.LBB18_6:                               ; =>This Inner Loop Header: Depth=1
	ds_load_b128 v[12:15], v0
	ds_load_b128 v[16:19], v0 offset:16
	s_mov_b32 s3, exec_lo
	s_waitcnt lgkmcnt(0)
	v_cmp_gt_f32_e64 s0, v13, v12
	s_delay_alu instid0(VALU_DEP_1) | instskip(SKIP_1) | instid1(VALU_DEP_2)
	v_cndmask_b32_e64 v12, v12, v13, s0
	v_cndmask_b32_e64 v13, 0, 1, s0
	v_cmp_gt_f32_e64 s0, v14, v12
	s_delay_alu instid0(VALU_DEP_1) | instskip(NEXT) | instid1(VALU_DEP_3)
	v_cndmask_b32_e64 v12, v12, v14, s0
	v_cndmask_b32_e64 v13, v13, 2, s0
	s_delay_alu instid0(VALU_DEP_2) | instskip(NEXT) | instid1(VALU_DEP_1)
	v_cmp_gt_f32_e64 s0, v15, v12
	v_cndmask_b32_e64 v12, v12, v15, s0
	s_delay_alu instid0(VALU_DEP_3) | instskip(NEXT) | instid1(VALU_DEP_2)
	v_cndmask_b32_e64 v13, v13, 3, s0
	v_cmp_gt_f32_e64 s0, v16, v12
	s_delay_alu instid0(VALU_DEP_1) | instskip(NEXT) | instid1(VALU_DEP_3)
	v_cndmask_b32_e64 v12, v12, v16, s0
	v_cndmask_b32_e64 v13, v13, 0x100, s0
	s_delay_alu instid0(VALU_DEP_2) | instskip(NEXT) | instid1(VALU_DEP_1)
	v_cmp_gt_f32_e64 s0, v17, v12
	v_cndmask_b32_e64 v12, v12, v17, s0
	s_delay_alu instid0(VALU_DEP_3) | instskip(NEXT) | instid1(VALU_DEP_2)
	v_cndmask_b32_e64 v13, v13, 0x101, s0
	v_cmp_gt_f32_e64 s0, v18, v12
	s_delay_alu instid0(VALU_DEP_1) | instskip(NEXT) | instid1(VALU_DEP_3)
	v_cndmask_b32_e64 v12, v12, v18, s0
	v_cndmask_b32_e64 v14, v13, 0x102, s0
	s_delay_alu instid0(VALU_DEP_2) | instskip(NEXT) | instid1(VALU_DEP_1)
	v_cmp_gt_f32_e64 s0, v19, v12
	v_cndmask_b32_e64 v13, v12, v19, s0
	s_delay_alu instid0(VALU_DEP_3)
	v_cndmask_b32_e64 v12, v14, 0x103, s0
	ds_bpermute_b32 v14, v3, v13
	v_or_b32_e32 v12, v10, v12
	ds_bpermute_b32 v15, v3, v12
	s_waitcnt lgkmcnt(1)
	v_cmp_lt_f32_e64 s2, v13, v14
	v_cmpx_nlt_f32_e32 v13, v14
	s_cbranch_execz .LBB18_8
; %bb.7:                                ;   in Loop: Header=BB18_6 Depth=1
	v_cmp_eq_f32_e64 s0, v13, v14
	s_waitcnt lgkmcnt(0)
	v_cmp_lt_i32_e64 s1, v15, v12
	s_delay_alu instid0(VALU_DEP_1) | instskip(SKIP_2) | instid1(SALU_CYCLE_1)
	s_and_b32 s0, s0, s1
	s_and_not1_b32 s1, s2, exec_lo
	s_and_b32 s0, s0, exec_lo
	s_or_b32 s2, s1, s0
.LBB18_8:                               ;   in Loop: Header=BB18_6 Depth=1
	s_or_b32 exec_lo, exec_lo, s3
	s_delay_alu instid0(VALU_DEP_2)
	s_and_saveexec_b32 s0, s2
	s_cbranch_execz .LBB18_10
; %bb.9:                                ;   in Loop: Header=BB18_6 Depth=1
	s_waitcnt lgkmcnt(0)
	v_dual_mov_b32 v13, v14 :: v_dual_mov_b32 v12, v15
.LBB18_10:                              ;   in Loop: Header=BB18_6 Depth=1
	s_or_b32 exec_lo, exec_lo, s0
	s_waitcnt lgkmcnt(0)
	ds_bpermute_b32 v15, v4, v13
	ds_bpermute_b32 v14, v4, v12
	s_mov_b32 s3, exec_lo
	s_waitcnt lgkmcnt(1)
	v_cmp_lt_f32_e64 s2, v13, v15
	v_cmpx_nlt_f32_e32 v13, v15
	s_cbranch_execz .LBB18_12
; %bb.11:                               ;   in Loop: Header=BB18_6 Depth=1
	v_cmp_eq_f32_e64 s0, v13, v15
	s_waitcnt lgkmcnt(0)
	v_cmp_lt_i32_e64 s1, v14, v12
	s_delay_alu instid0(VALU_DEP_1) | instskip(SKIP_2) | instid1(SALU_CYCLE_1)
	s_and_b32 s0, s0, s1
	s_and_not1_b32 s1, s2, exec_lo
	s_and_b32 s0, s0, exec_lo
	s_or_b32 s2, s1, s0
.LBB18_12:                              ;   in Loop: Header=BB18_6 Depth=1
	s_or_b32 exec_lo, exec_lo, s3
	s_delay_alu instid0(VALU_DEP_2)
	s_and_saveexec_b32 s0, s2
	s_cbranch_execz .LBB18_14
; %bb.13:                               ;   in Loop: Header=BB18_6 Depth=1
	s_waitcnt lgkmcnt(0)
	v_dual_mov_b32 v13, v15 :: v_dual_mov_b32 v12, v14
.LBB18_14:                              ;   in Loop: Header=BB18_6 Depth=1
	s_or_b32 exec_lo, exec_lo, s0
	ds_bpermute_b32 v15, v5, v13
	s_waitcnt lgkmcnt(1)
	ds_bpermute_b32 v14, v5, v12
	s_mov_b32 s3, exec_lo
	s_waitcnt lgkmcnt(1)
	v_cmp_lt_f32_e64 s2, v13, v15
	v_cmpx_nlt_f32_e32 v13, v15
	s_cbranch_execz .LBB18_16
; %bb.15:                               ;   in Loop: Header=BB18_6 Depth=1
	v_cmp_eq_f32_e64 s0, v13, v15
	s_waitcnt lgkmcnt(0)
	v_cmp_lt_i32_e64 s1, v14, v12
	s_delay_alu instid0(VALU_DEP_1) | instskip(SKIP_2) | instid1(SALU_CYCLE_1)
	s_and_b32 s0, s0, s1
	s_and_not1_b32 s1, s2, exec_lo
	s_and_b32 s0, s0, exec_lo
	s_or_b32 s2, s1, s0
.LBB18_16:                              ;   in Loop: Header=BB18_6 Depth=1
	s_or_b32 exec_lo, exec_lo, s3
	s_delay_alu instid0(VALU_DEP_2)
	s_and_saveexec_b32 s0, s2
	s_cbranch_execz .LBB18_18
; %bb.17:                               ;   in Loop: Header=BB18_6 Depth=1
	s_waitcnt lgkmcnt(0)
	v_dual_mov_b32 v13, v15 :: v_dual_mov_b32 v12, v14
.LBB18_18:                              ;   in Loop: Header=BB18_6 Depth=1
	s_or_b32 exec_lo, exec_lo, s0
	ds_bpermute_b32 v15, v6, v13
	s_waitcnt lgkmcnt(1)
	;; [unrolled: 27-line block ×3, first 2 shown]
	ds_bpermute_b32 v14, v7, v12
	s_mov_b32 s3, exec_lo
	s_waitcnt lgkmcnt(1)
	v_cmp_lt_f32_e64 s2, v13, v15
	v_cmpx_nlt_f32_e32 v13, v15
	s_cbranch_execz .LBB18_24
; %bb.23:                               ;   in Loop: Header=BB18_6 Depth=1
	v_cmp_eq_f32_e64 s0, v13, v15
	s_waitcnt lgkmcnt(0)
	v_cmp_lt_i32_e64 s1, v14, v12
	s_delay_alu instid0(VALU_DEP_1) | instskip(SKIP_2) | instid1(SALU_CYCLE_1)
	s_and_b32 s0, s0, s1
	s_and_not1_b32 s1, s2, exec_lo
	s_and_b32 s0, s0, exec_lo
	s_or_b32 s2, s1, s0
.LBB18_24:                              ;   in Loop: Header=BB18_6 Depth=1
	s_or_b32 exec_lo, exec_lo, s3
	s_delay_alu instid0(VALU_DEP_2)
	s_and_saveexec_b32 s0, s2
	s_cbranch_execz .LBB18_26
; %bb.25:                               ;   in Loop: Header=BB18_6 Depth=1
	s_waitcnt lgkmcnt(0)
	v_dual_mov_b32 v13, v15 :: v_dual_mov_b32 v12, v14
.LBB18_26:                              ;   in Loop: Header=BB18_6 Depth=1
	s_or_b32 exec_lo, exec_lo, s0
	s_waitcnt lgkmcnt(0)
	ds_bpermute_b32 v14, v8, v13
	ds_bpermute_b32 v15, v8, v12
	s_mov_b32 s3, exec_lo
	s_waitcnt lgkmcnt(1)
	v_cmp_lt_f32_e64 s2, v13, v14
	v_cmpx_nlt_f32_e32 v13, v14
	s_cbranch_execnz .LBB18_32
; %bb.27:                               ;   in Loop: Header=BB18_6 Depth=1
	s_or_b32 exec_lo, exec_lo, s3
	s_delay_alu instid0(VALU_DEP_2)
	s_and_saveexec_b32 s0, s2
	s_cbranch_execnz .LBB18_33
.LBB18_28:                              ;   in Loop: Header=BB18_6 Depth=1
	s_or_b32 exec_lo, exec_lo, s0
	s_and_saveexec_b32 s2, vcc_lo
	s_cbranch_execz .LBB18_30
.LBB18_29:                              ;   in Loop: Header=BB18_6 Depth=1
	v_add_nc_u32_e32 v14, s7, v9
	v_cmp_le_i32_e64 s0, s5, v12
	v_cmp_gt_i32_e64 s1, s6, v12
	v_subrev_nc_u32_e32 v16, s5, v12
	s_waitcnt lgkmcnt(0)
	v_ashrrev_i32_e32 v15, 31, v14
	s_delay_alu instid0(VALU_DEP_3) | instskip(NEXT) | instid1(SALU_CYCLE_1)
	s_and_b32 s0, s0, s1
	s_and_b32 s0, s15, s0
	s_delay_alu instid0(VALU_DEP_1) | instskip(SKIP_1) | instid1(VALU_DEP_2)
	v_lshlrev_b64 v[14:15], 2, v[14:15]
	v_cndmask_b32_e64 v20, 0x200, v16, s0
	v_add_co_u32 v16, s0, s12, v14
	s_delay_alu instid0(VALU_DEP_1) | instskip(SKIP_1) | instid1(VALU_DEP_1)
	v_add_co_ci_u32_e64 v17, s0, s13, v15, s0
	v_add_co_u32 v18, s0, s8, v14
	v_add_co_ci_u32_e64 v19, s0, s9, v15, s0
	v_add_co_u32 v14, s0, s10, v14
	s_delay_alu instid0(VALU_DEP_1)
	v_add_co_ci_u32_e64 v15, s0, s11, v15, s0
	global_store_b32 v[16:17], v13, off
	global_store_b32 v[18:19], v20, off
	;; [unrolled: 1-line block ×3, first 2 shown]
.LBB18_30:                              ;   in Loop: Header=BB18_6 Depth=1
	s_or_b32 exec_lo, exec_lo, s2
	v_ashrrev_i32_e32 v13, 31, v12
	s_add_i32 s7, s7, 1
	s_delay_alu instid0(SALU_CYCLE_1) | instskip(SKIP_1) | instid1(VALU_DEP_1)
	s_cmp_lt_i32 s7, s4
	s_cselect_b32 s1, -1, 0
	v_lshrrev_b32_e32 v14, 30, v13
	s_delay_alu instid0(VALU_DEP_1) | instskip(SKIP_1) | instid1(VALU_DEP_1)
	v_add_nc_u32_e32 v14, v12, v14
	s_waitcnt lgkmcnt(0)
	v_ashrrev_i32_e32 v15, 31, v14
	v_ashrrev_i32_e32 v14, 2, v14
	s_delay_alu instid0(VALU_DEP_2) | instskip(NEXT) | instid1(VALU_DEP_1)
	v_lshrrev_b32_e32 v15, 26, v15
	v_add_nc_u32_e32 v15, v14, v15
	s_delay_alu instid0(VALU_DEP_1) | instskip(NEXT) | instid1(VALU_DEP_1)
	v_and_b32_e32 v15, 0xffffffc0, v15
	v_sub_nc_u32_e32 v15, v14, v15
	s_delay_alu instid0(VALU_DEP_1) | instskip(NEXT) | instid1(VALU_DEP_1)
	v_cmp_eq_u32_e64 s0, v2, v15
	s_and_b32 s1, s1, s0
	s_delay_alu instid0(SALU_CYCLE_1)
	s_and_saveexec_b32 s0, s1
	s_cbranch_execz .LBB18_5
; %bb.31:                               ;   in Loop: Header=BB18_6 Depth=1
	v_lshrrev_b32_e32 v13, 24, v13
	v_lshlrev_b32_e32 v14, 2, v14
	s_delay_alu instid0(VALU_DEP_2) | instskip(NEXT) | instid1(VALU_DEP_2)
	v_add_nc_u32_e32 v13, v12, v13
	v_sub_nc_u32_e32 v12, v12, v14
	s_delay_alu instid0(VALU_DEP_2) | instskip(NEXT) | instid1(VALU_DEP_1)
	v_ashrrev_i32_e32 v13, 8, v13
	v_lshl_add_u32 v12, v13, 2, v12
	s_delay_alu instid0(VALU_DEP_1)
	v_lshl_add_u32 v12, v12, 2, v0
	ds_store_b32 v12, v11
	s_branch .LBB18_5
.LBB18_32:                              ;   in Loop: Header=BB18_6 Depth=1
	v_cmp_eq_f32_e64 s0, v13, v14
	s_waitcnt lgkmcnt(0)
	v_cmp_lt_i32_e64 s1, v15, v12
	s_delay_alu instid0(VALU_DEP_1) | instskip(SKIP_2) | instid1(SALU_CYCLE_1)
	s_and_b32 s0, s0, s1
	s_and_not1_b32 s1, s2, exec_lo
	s_and_b32 s0, s0, exec_lo
	s_or_b32 s2, s1, s0
	s_or_b32 exec_lo, exec_lo, s3
	s_and_saveexec_b32 s0, s2
	s_cbranch_execz .LBB18_28
.LBB18_33:                              ;   in Loop: Header=BB18_6 Depth=1
	s_waitcnt lgkmcnt(0)
	v_dual_mov_b32 v13, v14 :: v_dual_mov_b32 v12, v15
	s_or_b32 exec_lo, exec_lo, s0
	s_and_saveexec_b32 s2, vcc_lo
	s_cbranch_execnz .LBB18_29
	s_branch .LBB18_30
.LBB18_34:
	s_nop 0
	s_sendmsg sendmsg(MSG_DEALLOC_VGPRS)
	s_endpgm
	.section	.rodata,"a",@progbits
	.p2align	6, 0x0
	.amdhsa_kernel _ZN4vllm3moe17topkGatingSoftmaxILi8ELi512ELi4ELi16ELi64EiEEvPKfPKbPfiPT4_Piiii
		.amdhsa_group_segment_fixed_size 8192
		.amdhsa_private_segment_fixed_size 0
		.amdhsa_kernarg_size 60
		.amdhsa_user_sgpr_count 15
		.amdhsa_user_sgpr_dispatch_ptr 1
		.amdhsa_user_sgpr_queue_ptr 0
		.amdhsa_user_sgpr_kernarg_segment_ptr 1
		.amdhsa_user_sgpr_dispatch_id 0
		.amdhsa_user_sgpr_private_segment_size 0
		.amdhsa_wavefront_size32 1
		.amdhsa_uses_dynamic_stack 0
		.amdhsa_enable_private_segment 0
		.amdhsa_system_sgpr_workgroup_id_x 1
		.amdhsa_system_sgpr_workgroup_id_y 0
		.amdhsa_system_sgpr_workgroup_id_z 0
		.amdhsa_system_sgpr_workgroup_info 0
		.amdhsa_system_vgpr_workitem_id 2
		.amdhsa_next_free_vgpr 43
		.amdhsa_next_free_sgpr 16
		.amdhsa_reserve_vcc 1
		.amdhsa_float_round_mode_32 0
		.amdhsa_float_round_mode_16_64 0
		.amdhsa_float_denorm_mode_32 3
		.amdhsa_float_denorm_mode_16_64 3
		.amdhsa_dx10_clamp 1
		.amdhsa_ieee_mode 1
		.amdhsa_fp16_overflow 0
		.amdhsa_workgroup_processor_mode 1
		.amdhsa_memory_ordered 1
		.amdhsa_forward_progress 0
		.amdhsa_shared_vgpr_count 0
		.amdhsa_exception_fp_ieee_invalid_op 0
		.amdhsa_exception_fp_denorm_src 0
		.amdhsa_exception_fp_ieee_div_zero 0
		.amdhsa_exception_fp_ieee_overflow 0
		.amdhsa_exception_fp_ieee_underflow 0
		.amdhsa_exception_fp_ieee_inexact 0
		.amdhsa_exception_int_div_zero 0
	.end_amdhsa_kernel
	.section	.text._ZN4vllm3moe17topkGatingSoftmaxILi8ELi512ELi4ELi16ELi64EiEEvPKfPKbPfiPT4_Piiii,"axG",@progbits,_ZN4vllm3moe17topkGatingSoftmaxILi8ELi512ELi4ELi16ELi64EiEEvPKfPKbPfiPT4_Piiii,comdat
.Lfunc_end18:
	.size	_ZN4vllm3moe17topkGatingSoftmaxILi8ELi512ELi4ELi16ELi64EiEEvPKfPKbPfiPT4_Piiii, .Lfunc_end18-_ZN4vllm3moe17topkGatingSoftmaxILi8ELi512ELi4ELi16ELi64EiEEvPKfPKbPfiPT4_Piiii
                                        ; -- End function
	.section	.AMDGPU.csdata,"",@progbits
; Kernel info:
; codeLenInByte = 3012
; NumSgprs: 18
; NumVgprs: 43
; ScratchSize: 0
; MemoryBound: 0
; FloatMode: 240
; IeeeMode: 1
; LDSByteSize: 8192 bytes/workgroup (compile time only)
; SGPRBlocks: 2
; VGPRBlocks: 5
; NumSGPRsForWavesPerEU: 18
; NumVGPRsForWavesPerEU: 43
; Occupancy: 16
; WaveLimiterHint : 0
; COMPUTE_PGM_RSRC2:SCRATCH_EN: 0
; COMPUTE_PGM_RSRC2:USER_SGPR: 15
; COMPUTE_PGM_RSRC2:TRAP_HANDLER: 0
; COMPUTE_PGM_RSRC2:TGID_X_EN: 1
; COMPUTE_PGM_RSRC2:TGID_Y_EN: 0
; COMPUTE_PGM_RSRC2:TGID_Z_EN: 0
; COMPUTE_PGM_RSRC2:TIDIG_COMP_CNT: 2
	.section	.text._ZN4vllm3moe17topkGatingSoftmaxILi16ELi512ELi4ELi16ELi32EiEEvPKfPKbPfiPT4_Piiii,"axG",@progbits,_ZN4vllm3moe17topkGatingSoftmaxILi16ELi512ELi4ELi16ELi32EiEEvPKfPKbPfiPT4_Piiii,comdat
	.protected	_ZN4vllm3moe17topkGatingSoftmaxILi16ELi512ELi4ELi16ELi32EiEEvPKfPKbPfiPT4_Piiii ; -- Begin function _ZN4vllm3moe17topkGatingSoftmaxILi16ELi512ELi4ELi16ELi32EiEEvPKfPKbPfiPT4_Piiii
	.globl	_ZN4vllm3moe17topkGatingSoftmaxILi16ELi512ELi4ELi16ELi32EiEEvPKfPKbPfiPT4_Piiii
	.p2align	8
	.type	_ZN4vllm3moe17topkGatingSoftmaxILi16ELi512ELi4ELi16ELi32EiEEvPKfPKbPfiPT4_Piiii,@function
_ZN4vllm3moe17topkGatingSoftmaxILi16ELi512ELi4ELi16ELi32EiEEvPKfPKbPfiPT4_Piiii: ; @_ZN4vllm3moe17topkGatingSoftmaxILi16ELi512ELi4ELi16ELi32EiEEvPKfPKbPfiPT4_Piiii
; %bb.0:
	s_load_b32 s14, s[2:3], 0x18
	v_and_b32_e32 v8, 0x3ff, v0
	v_bfe_u32 v9, v0, 10, 10
	s_lshl_b32 s4, s15, 2
	s_delay_alu instid0(VALU_DEP_2) | instskip(NEXT) | instid1(VALU_DEP_1)
	v_lshrrev_b32_e32 v1, 5, v8
	v_add3_u32 v1, s4, v9, v1
	s_mov_b32 s4, exec_lo
	s_waitcnt lgkmcnt(0)
	s_delay_alu instid0(VALU_DEP_1)
	v_cmpx_gt_i32_e64 s14, v1
	s_cbranch_execz .LBB19_30
; %bb.1:
	s_clause 0x1
	s_load_b128 s[4:7], s[2:3], 0x0
	s_load_b64 s[12:13], s[2:3], 0x10
	s_mov_b32 s15, -1
	s_waitcnt lgkmcnt(0)
	s_cmp_eq_u64 s[6:7], 0
	s_cbranch_scc1 .LBB19_3
; %bb.2:
	v_ashrrev_i32_e32 v3, 31, v1
	v_add_co_u32 v2, vcc_lo, s6, v1
	s_delay_alu instid0(VALU_DEP_2) | instskip(SKIP_3) | instid1(VALU_DEP_1)
	v_add_co_ci_u32_e32 v3, vcc_lo, s7, v3, vcc_lo
	global_load_u8 v2, v[2:3], off
	s_waitcnt vmcnt(0)
	v_and_b32_e32 v2, 1, v2
	v_cmp_eq_u32_e32 vcc_lo, 1, v2
	s_xor_b32 s6, vcc_lo, -1
	s_delay_alu instid0(SALU_CYCLE_1)
	s_or_not1_b32 s15, s6, exec_lo
.LBB19_3:
	v_lshlrev_b32_e32 v3, 9, v1
	v_and_b32_e32 v2, 31, v8
	v_mbcnt_lo_u32_b32 v7, -1, 0
	s_load_b64 s[0:1], s[0:1], 0x4
	v_bfe_u32 v0, v0, 20, 10
	v_ashrrev_i32_e32 v4, 31, v3
	v_lshlrev_b32_e32 v5, 4, v2
	v_xor_b32_e32 v6, 8, v7
	s_delay_alu instid0(VALU_DEP_3) | instskip(NEXT) | instid1(VALU_DEP_1)
	v_lshlrev_b64 v[3:4], 2, v[3:4]
	v_add_co_u32 v3, vcc_lo, s4, v3
	s_delay_alu instid0(VALU_DEP_2) | instskip(SKIP_1) | instid1(VALU_DEP_2)
	v_add_co_ci_u32_e32 v4, vcc_lo, s5, v4, vcc_lo
	s_load_b128 s[4:7], s[2:3], 0x30
	v_add_co_u32 v3, vcc_lo, v3, v5
	s_delay_alu instid0(VALU_DEP_2)
	v_add_co_ci_u32_e32 v4, vcc_lo, 0, v4, vcc_lo
	s_waitcnt lgkmcnt(0)
	v_mul_u32_u24_e32 v9, s1, v9
	s_lshr_b32 s0, s0, 16
	s_mov_b32 s7, 0
	s_clause 0x3
	global_load_b128 v[10:13], v[3:4], off
	global_load_b128 v[14:17], v[3:4], off offset:512
	global_load_b128 v[18:21], v[3:4], off offset:1024
	;; [unrolled: 1-line block ×3, first 2 shown]
	s_mul_i32 s0, s0, s1
	s_delay_alu instid0(SALU_CYCLE_1) | instskip(NEXT) | instid1(VALU_DEP_1)
	v_mad_u32_u24 v8, s0, v8, v9
	v_add_lshl_u32 v0, v8, v0, 6
	s_cmp_lt_i32 s4, 1
	s_waitcnt vmcnt(3)
	v_dual_max_f32 v3, v11, v11 :: v_dual_max_f32 v4, v10, v10
	s_delay_alu instid0(VALU_DEP_1) | instskip(SKIP_1) | instid1(VALU_DEP_1)
	v_max_f32_e32 v3, v4, v3
	v_xor_b32_e32 v4, 16, v7
	v_cmp_gt_i32_e32 vcc_lo, 32, v4
	v_cndmask_b32_e32 v4, v7, v4, vcc_lo
	v_cmp_gt_i32_e32 vcc_lo, 32, v6
	v_cndmask_b32_e32 v6, v7, v6, vcc_lo
	v_max3_f32 v3, v3, v12, v13
	s_waitcnt vmcnt(2)
	s_delay_alu instid0(VALU_DEP_1) | instskip(NEXT) | instid1(VALU_DEP_1)
	v_max3_f32 v3, v3, v14, v15
	v_max3_f32 v3, v3, v16, v17
	s_waitcnt vmcnt(1)
	s_delay_alu instid0(VALU_DEP_1) | instskip(NEXT) | instid1(VALU_DEP_1)
	v_max3_f32 v3, v3, v18, v19
	;; [unrolled: 4-line block ×3, first 2 shown]
	v_max3_f32 v5, v5, v24, v25
	v_lshlrev_b32_e32 v3, 2, v4
	ds_bpermute_b32 v4, v3, v5
	s_waitcnt lgkmcnt(0)
	v_max_f32_e32 v26, v4, v4
	v_lshlrev_b32_e32 v4, 2, v6
	s_delay_alu instid0(VALU_DEP_2)
	v_max_f32_e32 v6, v5, v26
	v_xor_b32_e32 v26, 4, v7
	ds_bpermute_b32 v5, v4, v6
	v_cmp_gt_i32_e32 vcc_lo, 32, v26
	s_waitcnt lgkmcnt(0)
	v_dual_cndmask_b32 v26, v7, v26 :: v_dual_max_f32 v27, v5, v5
	s_delay_alu instid0(VALU_DEP_1)
	v_dual_max_f32 v26, v6, v27 :: v_dual_lshlrev_b32 v5, 2, v26
	v_xor_b32_e32 v27, 2, v7
	ds_bpermute_b32 v6, v5, v26
	v_cmp_gt_i32_e32 vcc_lo, 32, v27
	s_waitcnt lgkmcnt(0)
	v_dual_cndmask_b32 v27, v7, v27 :: v_dual_max_f32 v28, v6, v6
	s_delay_alu instid0(VALU_DEP_1) | instskip(SKIP_1) | instid1(VALU_DEP_1)
	v_max_f32_e32 v26, v26, v28
	v_xor_b32_e32 v28, 1, v7
	v_cmp_gt_i32_e32 vcc_lo, 32, v28
	s_delay_alu instid0(VALU_DEP_4) | instskip(SKIP_4) | instid1(VALU_DEP_1)
	v_dual_cndmask_b32 v7, v7, v28 :: v_dual_lshlrev_b32 v6, 2, v27
	ds_bpermute_b32 v27, v6, v26
	v_lshlrev_b32_e32 v7, 2, v7
	s_waitcnt lgkmcnt(0)
	v_max_f32_e32 v27, v27, v27
	v_max_f32_e32 v26, v26, v27
	ds_bpermute_b32 v27, v7, v26
	s_waitcnt lgkmcnt(0)
	v_max_f32_e32 v27, v27, v27
	s_delay_alu instid0(VALU_DEP_1) | instskip(NEXT) | instid1(VALU_DEP_1)
	v_max_f32_e32 v26, v26, v27
	v_sub_f32_e32 v17, v17, v26
	s_delay_alu instid0(VALU_DEP_1)
	v_mul_f32_e32 v33, 0x3fb8aa3b, v17
	v_sub_f32_e32 v25, v25, v26
	v_sub_f32_e32 v20, v20, v26
	v_sub_f32_e32 v19, v19, v26
	v_sub_f32_e32 v14, v14, v26
	v_rndne_f32_e32 v57, v33
	v_mul_f32_e32 v41, 0x3fb8aa3b, v25
	v_dual_sub_f32 v15, v15, v26 :: v_dual_mul_f32 v36, 0x3fb8aa3b, v20
	v_sub_f32_e32 v12, v12, v26
	s_delay_alu instid0(VALU_DEP_3) | instskip(NEXT) | instid1(VALU_DEP_3)
	v_rndne_f32_e32 v73, v41
	v_mul_f32_e32 v31, 0x3fb8aa3b, v15
	s_delay_alu instid0(VALU_DEP_3) | instskip(SKIP_2) | instid1(VALU_DEP_4)
	v_dual_sub_f32 v11, v11, v26 :: v_dual_mul_f32 v28, 0x3fb8aa3b, v12
	v_sub_f32_e32 v10, v10, v26
	v_fma_f32 v62, 0x3fb8aa3b, v20, -v36
	v_rndne_f32_e32 v53, v31
	s_delay_alu instid0(VALU_DEP_4)
	v_mul_f32_e32 v27, 0x3fb8aa3b, v11
	v_fma_f32 v46, 0x3fb8aa3b, v12, -v28
	v_sub_f32_e32 v23, v23, v26
	v_fma_f32 v52, 0x3fb8aa3b, v15, -v31
	v_rndne_f32_e32 v47, v28
	v_fma_f32 v44, 0x3fb8aa3b, v11, -v27
	v_dual_fmac_f32 v46, 0x32a5705f, v12 :: v_dual_sub_f32 v21, v21, v26
	v_dual_sub_f32 v18, v18, v26 :: v_dual_mul_f32 v39, 0x3fb8aa3b, v23
	s_delay_alu instid0(VALU_DEP_3) | instskip(NEXT) | instid1(VALU_DEP_3)
	v_fmac_f32_e32 v44, 0x32a5705f, v11
	v_dual_sub_f32 v16, v16, v26 :: v_dual_mul_f32 v37, 0x3fb8aa3b, v21
	v_sub_f32_e32 v13, v13, v26
	v_rndne_f32_e32 v45, v27
	v_sub_f32_e32 v22, v22, v26
	s_delay_alu instid0(VALU_DEP_4) | instskip(NEXT) | instid1(VALU_DEP_4)
	v_dual_mul_f32 v32, 0x3fb8aa3b, v16 :: v_dual_sub_f32 v31, v31, v53
	v_mul_f32_e32 v29, 0x3fb8aa3b, v13
	s_delay_alu instid0(VALU_DEP_4)
	v_sub_f32_e32 v27, v27, v45
	v_rndne_f32_e32 v69, v39
	v_fma_f32 v68, 0x3fb8aa3b, v23, -v39
	v_sub_f32_e32 v28, v28, v47
	v_rndne_f32_e32 v49, v29
	v_sub_f32_e32 v24, v24, v26
	v_mul_f32_e32 v26, 0x3fb8aa3b, v10
	v_fma_f32 v48, 0x3fb8aa3b, v13, -v29
	v_sub_f32_e32 v39, v39, v69
	v_dual_add_f32 v27, v27, v44 :: v_dual_add_f32 v28, v28, v46
	s_delay_alu instid0(VALU_DEP_4) | instskip(SKIP_2) | instid1(VALU_DEP_4)
	v_fma_f32 v42, 0x3fb8aa3b, v10, -v26
	v_rndne_f32_e32 v43, v26
	v_fmac_f32_e32 v48, 0x32a5705f, v13
	v_exp_f32_e32 v27, v27
	v_cvt_i32_f32_e32 v45, v45
	v_fmac_f32_e32 v42, 0x32a5705f, v10
	v_sub_f32_e32 v26, v26, v43
	v_cvt_i32_f32_e32 v43, v43
	v_dual_mul_f32 v35, 0x3fb8aa3b, v19 :: v_dual_mul_f32 v30, 0x3fb8aa3b, v14
	v_exp_f32_e32 v28, v28
	s_delay_alu instid0(VALU_DEP_3)
	v_add_f32_e32 v26, v26, v42
	v_cmp_ngt_f32_e32 vcc_lo, 0xc2ce8ed0, v10
	v_fma_f32 v54, 0x3fb8aa3b, v16, -v32
	v_cvt_i32_f32_e32 v47, v47
	v_sub_f32_e32 v29, v29, v49
	v_exp_f32_e32 v26, v26
	v_mul_f32_e32 v40, 0x3fb8aa3b, v24
	v_fma_f32 v56, 0x3fb8aa3b, v17, -v33
	v_sub_f32_e32 v33, v33, v57
	v_rndne_f32_e32 v51, v30
	v_ldexp_f32 v27, v27, v45
	v_fma_f32 v50, 0x3fb8aa3b, v14, -v30
	v_add_f32_e32 v29, v29, v48
	v_ldexp_f32 v28, v28, v47
	v_sub_f32_e32 v30, v30, v51
	v_ldexp_f32 v26, v26, v43
	v_fma_f32 v60, 0x3fb8aa3b, v19, -v35
	v_rndne_f32_e32 v61, v35
	v_fma_f32 v72, 0x3fb8aa3b, v25, -v41
	v_dual_fmac_f32 v50, 0x32a5705f, v14 :: v_dual_sub_f32 v41, v41, v73
	v_cndmask_b32_e32 v26, 0, v26, vcc_lo
	v_cmp_ngt_f32_e32 vcc_lo, 0xc2ce8ed0, v11
	v_fmac_f32_e32 v54, 0x32a5705f, v16
	v_exp_f32_e32 v29, v29
	v_dual_mul_f32 v34, 0x3fb8aa3b, v18 :: v_dual_sub_f32 v35, v35, v61
	v_cndmask_b32_e32 v27, 0, v27, vcc_lo
	v_cmp_ngt_f32_e32 vcc_lo, 0xc2ce8ed0, v12
	v_cvt_i32_f32_e32 v49, v49
	v_fmac_f32_e32 v72, 0x32a5705f, v25
	v_fmac_f32_e32 v60, 0x32a5705f, v19
	v_add_f32_e32 v30, v30, v50
	v_cndmask_b32_e32 v28, 0, v28, vcc_lo
	v_cmp_nlt_f32_e32 vcc_lo, 0x42b17218, v10
	v_rndne_f32_e32 v55, v32
	v_dual_add_f32 v41, v41, v72 :: v_dual_fmac_f32 v56, 0x32a5705f, v17
	v_dual_add_f32 v35, v35, v60 :: v_dual_cndmask_b32 v10, 0x7f800000, v26
	v_cmp_nlt_f32_e32 vcc_lo, 0x42b17218, v11
	s_delay_alu instid0(VALU_DEP_3)
	v_dual_fmac_f32 v52, 0x32a5705f, v15 :: v_dual_add_f32 v33, v33, v56
	v_exp_f32_e32 v30, v30
	v_ldexp_f32 v29, v29, v49
	v_cndmask_b32_e32 v11, 0x7f800000, v27, vcc_lo
	v_cmp_ngt_f32_e32 vcc_lo, 0xc2ce8ed0, v13
	v_cvt_i32_f32_e32 v51, v51
	v_dual_sub_f32 v32, v32, v55 :: v_dual_add_f32 v31, v31, v52
	v_rndne_f32_e32 v63, v36
	v_cndmask_b32_e32 v26, 0, v29, vcc_lo
	v_cmp_nlt_f32_e32 vcc_lo, 0x42b17218, v12
	s_delay_alu instid0(TRANS32_DEP_1)
	v_ldexp_f32 v30, v30, v51
	v_exp_f32_e32 v31, v31
	v_cvt_i32_f32_e32 v53, v53
	v_add_f32_e32 v32, v32, v54
	v_cndmask_b32_e32 v12, 0x7f800000, v28, vcc_lo
	v_cmp_ngt_f32_e32 vcc_lo, 0xc2ce8ed0, v14
	v_fma_f32 v64, 0x3fb8aa3b, v21, -v37
	v_dual_fmac_f32 v62, 0x32a5705f, v20 :: v_dual_add_f32 v27, v10, v11
	v_exp_f32_e32 v32, v32
	v_cndmask_b32_e32 v28, 0, v30, vcc_lo
	v_cmp_nlt_f32_e32 vcc_lo, 0x42b17218, v13
	v_sub_f32_e32 v36, v36, v63
	v_exp_f32_e32 v41, v41
	v_ldexp_f32 v31, v31, v53
	v_fma_f32 v58, 0x3fb8aa3b, v18, -v34
	v_cndmask_b32_e32 v13, 0x7f800000, v26, vcc_lo
	v_cmp_ngt_f32_e32 vcc_lo, 0xc2ce8ed0, v15
	v_rndne_f32_e32 v59, v34
	v_rndne_f32_e32 v65, v37
	v_cvt_i32_f32_e32 v55, v55
	v_fmac_f32_e32 v64, 0x32a5705f, v21
	v_cvt_i32_f32_e32 v73, v73
	v_dual_add_f32 v26, v27, v12 :: v_dual_cndmask_b32 v27, 0, v31
	v_cmp_nlt_f32_e32 vcc_lo, 0x42b17218, v14
	v_dual_mul_f32 v38, 0x3fb8aa3b, v22 :: v_dual_sub_f32 v37, v37, v65
	v_fmac_f32_e32 v58, 0x32a5705f, v18
	v_exp_f32_e32 v33, v33
	v_ldexp_f32 v32, v32, v55
	v_ldexp_f32 v41, v41, v73
	v_dual_add_f32 v37, v37, v64 :: v_dual_fmac_f32 v68, 0x32a5705f, v23
	v_sub_f32_e32 v34, v34, v59
	v_cndmask_b32_e32 v14, 0x7f800000, v28, vcc_lo
	v_cmp_ngt_f32_e32 vcc_lo, 0xc2ce8ed0, v16
	v_cvt_i32_f32_e32 v57, v57
	s_delay_alu instid0(VALU_DEP_4)
	v_dual_add_f32 v39, v39, v68 :: v_dual_add_f32 v34, v34, v58
	v_fma_f32 v66, 0x3fb8aa3b, v22, -v38
	v_cndmask_b32_e32 v28, 0, v32, vcc_lo
	v_cmp_nlt_f32_e32 vcc_lo, 0x42b17218, v15
	v_ldexp_f32 v33, v33, v57
	v_exp_f32_e32 v34, v34
	v_cvt_i32_f32_e32 v59, v59
	v_exp_f32_e32 v35, v35
	v_cndmask_b32_e32 v15, 0x7f800000, v27, vcc_lo
	v_cmp_ngt_f32_e32 vcc_lo, 0xc2ce8ed0, v17
	v_fmac_f32_e32 v66, 0x32a5705f, v22
	v_cvt_i32_f32_e32 v61, v61
	v_add_f32_e32 v36, v36, v62
	v_fma_f32 v70, 0x3fb8aa3b, v24, -v40
	v_cndmask_b32_e32 v27, 0, v33, vcc_lo
	v_cmp_nlt_f32_e32 vcc_lo, 0x42b17218, v16
	v_ldexp_f32 v34, v34, v59
	v_exp_f32_e32 v36, v36
	v_ldexp_f32 v35, v35, v61
	v_cvt_i32_f32_e32 v63, v63
	v_cndmask_b32_e32 v16, 0x7f800000, v28, vcc_lo
	v_cmp_ngt_f32_e32 vcc_lo, 0xc2ce8ed0, v18
	v_exp_f32_e32 v37, v37
	v_rndne_f32_e32 v67, v38
	v_cvt_i32_f32_e32 v65, v65
	v_add_f32_e32 v26, v26, v13
	v_cndmask_b32_e32 v28, 0, v34, vcc_lo
	v_cmp_nlt_f32_e32 vcc_lo, 0x42b17218, v17
	v_ldexp_f32 v36, v36, v63
	v_rndne_f32_e32 v71, v40
	v_add_f32_e32 v26, v26, v14
	v_exp_f32_e32 v39, v39
	v_cndmask_b32_e32 v17, 0x7f800000, v27, vcc_lo
	v_cmp_ngt_f32_e32 vcc_lo, 0xc2ce8ed0, v19
	v_fmac_f32_e32 v70, 0x32a5705f, v24
	v_ldexp_f32 v37, v37, v65
	v_sub_f32_e32 v40, v40, v71
	v_add_f32_e32 v26, v26, v15
	v_cndmask_b32_e32 v27, 0, v35, vcc_lo
	v_cmp_nlt_f32_e32 vcc_lo, 0x42b17218, v18
	v_cvt_i32_f32_e32 v69, v69
	v_add_f32_e32 v40, v40, v70
	v_add_f32_e32 v26, v26, v16
	v_cvt_i32_f32_e32 v71, v71
	v_cndmask_b32_e32 v18, 0x7f800000, v28, vcc_lo
	v_cmp_ngt_f32_e32 vcc_lo, 0xc2ce8ed0, v20
	v_exp_f32_e32 v40, v40
	v_ldexp_f32 v39, v39, v69
	v_add_f32_e32 v26, v26, v17
	v_cndmask_b32_e32 v28, 0, v36, vcc_lo
	v_cmp_nlt_f32_e32 vcc_lo, 0x42b17218, v19
	s_delay_alu instid0(VALU_DEP_3) | instskip(SKIP_3) | instid1(TRANS32_DEP_1)
	v_dual_add_f32 v26, v26, v18 :: v_dual_cndmask_b32 v19, 0x7f800000, v27
	v_cmp_ngt_f32_e32 vcc_lo, 0xc2ce8ed0, v21
	v_sub_f32_e32 v38, v38, v67
	v_cvt_i32_f32_e32 v67, v67
	v_ldexp_f32 v40, v40, v71
	v_dual_add_f32 v26, v26, v19 :: v_dual_cndmask_b32 v27, 0, v37
	s_delay_alu instid0(VALU_DEP_4) | instskip(SKIP_1) | instid1(VALU_DEP_2)
	v_add_f32_e32 v38, v38, v66
	v_cmp_nlt_f32_e32 vcc_lo, 0x42b17218, v20
	v_exp_f32_e32 v38, v38
	v_cndmask_b32_e32 v20, 0x7f800000, v28, vcc_lo
	v_cmp_ngt_f32_e32 vcc_lo, 0xc2ce8ed0, v22
	s_delay_alu instid0(VALU_DEP_2) | instskip(SKIP_2) | instid1(VALU_DEP_1)
	v_add_f32_e32 v26, v26, v20
	s_waitcnt_depctr 0xfff
	v_ldexp_f32 v38, v38, v67
	v_cndmask_b32_e32 v28, 0, v38, vcc_lo
	v_cmp_nlt_f32_e32 vcc_lo, 0x42b17218, v21
	v_cndmask_b32_e32 v21, 0x7f800000, v27, vcc_lo
	v_cmp_ngt_f32_e32 vcc_lo, 0xc2ce8ed0, v23
	s_delay_alu instid0(VALU_DEP_2) | instskip(SKIP_3) | instid1(VALU_DEP_2)
	v_dual_add_f32 v26, v26, v21 :: v_dual_cndmask_b32 v27, 0, v39
	v_cmp_nlt_f32_e32 vcc_lo, 0x42b17218, v22
	v_cndmask_b32_e32 v22, 0x7f800000, v28, vcc_lo
	v_cmp_ngt_f32_e32 vcc_lo, 0xc2ce8ed0, v24
	v_add_f32_e32 v26, v26, v22
	v_cndmask_b32_e32 v28, 0, v40, vcc_lo
	v_cmp_nlt_f32_e32 vcc_lo, 0x42b17218, v23
	v_cndmask_b32_e32 v23, 0x7f800000, v27, vcc_lo
	v_cmp_ngt_f32_e32 vcc_lo, 0xc2ce8ed0, v25
	s_delay_alu instid0(VALU_DEP_2) | instskip(SKIP_3) | instid1(VALU_DEP_2)
	v_dual_add_f32 v26, v26, v23 :: v_dual_cndmask_b32 v27, 0, v41
	v_cmp_nlt_f32_e32 vcc_lo, 0x42b17218, v24
	v_cndmask_b32_e32 v24, 0x7f800000, v28, vcc_lo
	v_cmp_nlt_f32_e32 vcc_lo, 0x42b17218, v25
	v_dual_add_f32 v26, v26, v24 :: v_dual_cndmask_b32 v25, 0x7f800000, v27
	s_delay_alu instid0(VALU_DEP_1)
	v_add_f32_e32 v26, v26, v25
	ds_bpermute_b32 v27, v3, v26
	s_waitcnt lgkmcnt(0)
	v_add_f32_e32 v26, v26, v27
	ds_bpermute_b32 v27, v4, v26
	s_waitcnt lgkmcnt(0)
	;; [unrolled: 3-line block ×5, first 2 shown]
	v_add_f32_e32 v26, v26, v27
	s_delay_alu instid0(VALU_DEP_1) | instskip(SKIP_1) | instid1(VALU_DEP_2)
	v_div_scale_f32 v27, null, v26, v26, 1.0
	v_div_scale_f32 v30, vcc_lo, 1.0, v26, 1.0
	v_rcp_f32_e32 v28, v27
	s_waitcnt_depctr 0xfff
	v_fma_f32 v29, -v27, v28, 1.0
	s_delay_alu instid0(VALU_DEP_1) | instskip(NEXT) | instid1(VALU_DEP_1)
	v_fmac_f32_e32 v28, v29, v28
	v_mul_f32_e32 v29, v30, v28
	s_delay_alu instid0(VALU_DEP_1) | instskip(NEXT) | instid1(VALU_DEP_1)
	v_fma_f32 v31, -v27, v29, v30
	v_fmac_f32_e32 v29, v31, v28
	s_delay_alu instid0(VALU_DEP_1) | instskip(NEXT) | instid1(VALU_DEP_1)
	v_fma_f32 v27, -v27, v29, v30
	v_div_fmas_f32 v27, v27, v28, v29
	s_delay_alu instid0(VALU_DEP_1) | instskip(NEXT) | instid1(VALU_DEP_1)
	v_div_fixup_f32 v26, v27, v26, 1.0
	v_mul_f32_e32 v9, v26, v11
	v_mul_f32_e32 v11, v26, v13
	;; [unrolled: 1-line block ×16, first 2 shown]
	ds_store_b128 v0, v[8:11]
	ds_store_b128 v0, v[12:15] offset:16
	ds_store_b128 v0, v[16:19] offset:32
	;; [unrolled: 1-line block ×3, first 2 shown]
	s_cbranch_scc1 .LBB19_30
; %bb.4:
	s_load_b128 s[8:11], s[2:3], 0x20
	v_mul_lo_u32 v8, v1, s4
	v_dual_mov_b32 v10, 0xc61c4000 :: v_dual_lshlrev_b32 v9, 2, v2
	v_cmp_eq_u32_e32 vcc_lo, 0, v2
	s_branch .LBB19_6
.LBB19_5:                               ;   in Loop: Header=BB19_6 Depth=1
	s_or_b32 exec_lo, exec_lo, s0
	v_add_nc_u32_e32 v1, s14, v1
	s_cmp_lg_u32 s4, s7
	s_cbranch_scc0 .LBB19_30
.LBB19_6:                               ; =>This Inner Loop Header: Depth=1
	ds_load_b128 v[11:14], v0
	ds_load_b128 v[15:18], v0 offset:16
	s_mov_b32 s3, exec_lo
	s_waitcnt lgkmcnt(0)
	v_cmp_gt_f32_e64 s0, v12, v11
	s_delay_alu instid0(VALU_DEP_1) | instskip(SKIP_1) | instid1(VALU_DEP_2)
	v_cndmask_b32_e64 v11, v11, v12, s0
	v_cndmask_b32_e64 v12, 0, 1, s0
	v_cmp_gt_f32_e64 s0, v13, v11
	s_delay_alu instid0(VALU_DEP_1) | instskip(NEXT) | instid1(VALU_DEP_3)
	v_cndmask_b32_e64 v11, v11, v13, s0
	v_cndmask_b32_e64 v12, v12, 2, s0
	s_delay_alu instid0(VALU_DEP_2) | instskip(NEXT) | instid1(VALU_DEP_1)
	v_cmp_gt_f32_e64 s0, v14, v11
	v_cndmask_b32_e64 v11, v11, v14, s0
	s_delay_alu instid0(VALU_DEP_3) | instskip(NEXT) | instid1(VALU_DEP_2)
	v_cndmask_b32_e64 v19, v12, 3, s0
	v_cmp_gt_f32_e64 s0, v15, v11
	s_delay_alu instid0(VALU_DEP_1) | instskip(NEXT) | instid1(VALU_DEP_3)
	v_cndmask_b32_e64 v15, v11, v15, s0
	v_cndmask_b32_e64 v19, v19, 0x80, s0
	ds_load_b128 v[11:14], v0 offset:32
	v_cmp_gt_f32_e64 s0, v16, v15
	s_delay_alu instid0(VALU_DEP_1) | instskip(SKIP_1) | instid1(VALU_DEP_2)
	v_cndmask_b32_e64 v15, v15, v16, s0
	v_cndmask_b32_e64 v16, v19, 0x81, s0
	v_cmp_gt_f32_e64 s0, v17, v15
	s_delay_alu instid0(VALU_DEP_1) | instskip(NEXT) | instid1(VALU_DEP_3)
	v_cndmask_b32_e64 v15, v15, v17, s0
	v_cndmask_b32_e64 v19, v16, 0x82, s0
	s_delay_alu instid0(VALU_DEP_2) | instskip(NEXT) | instid1(VALU_DEP_1)
	v_cmp_gt_f32_e64 s0, v18, v15
	v_cndmask_b32_e64 v20, v15, v18, s0
	ds_load_b128 v[15:18], v0 offset:48
	v_cndmask_b32_e64 v19, v19, 0x83, s0
	s_waitcnt lgkmcnt(1)
	v_cmp_gt_f32_e64 s0, v11, v20
	s_delay_alu instid0(VALU_DEP_1) | instskip(NEXT) | instid1(VALU_DEP_3)
	v_cndmask_b32_e64 v11, v20, v11, s0
	v_cndmask_b32_e64 v19, v19, 0x100, s0
	s_delay_alu instid0(VALU_DEP_2) | instskip(NEXT) | instid1(VALU_DEP_1)
	v_cmp_gt_f32_e64 s0, v12, v11
	v_cndmask_b32_e64 v11, v11, v12, s0
	s_delay_alu instid0(VALU_DEP_3) | instskip(NEXT) | instid1(VALU_DEP_2)
	v_cndmask_b32_e64 v12, v19, 0x101, s0
	v_cmp_gt_f32_e64 s0, v13, v11
	s_delay_alu instid0(VALU_DEP_1) | instskip(NEXT) | instid1(VALU_DEP_3)
	v_cndmask_b32_e64 v11, v11, v13, s0
	v_cndmask_b32_e64 v12, v12, 0x102, s0
	s_delay_alu instid0(VALU_DEP_2) | instskip(NEXT) | instid1(VALU_DEP_1)
	v_cmp_gt_f32_e64 s0, v14, v11
	v_cndmask_b32_e64 v11, v11, v14, s0
	s_delay_alu instid0(VALU_DEP_3) | instskip(SKIP_1) | instid1(VALU_DEP_2)
	v_cndmask_b32_e64 v12, v12, 0x103, s0
	s_waitcnt lgkmcnt(0)
	v_cmp_gt_f32_e64 s0, v15, v11
	s_delay_alu instid0(VALU_DEP_1) | instskip(NEXT) | instid1(VALU_DEP_3)
	v_cndmask_b32_e64 v11, v11, v15, s0
	v_cndmask_b32_e64 v12, v12, 0x180, s0
	s_delay_alu instid0(VALU_DEP_2) | instskip(NEXT) | instid1(VALU_DEP_1)
	v_cmp_gt_f32_e64 s0, v16, v11
	v_cndmask_b32_e64 v11, v11, v16, s0
	s_delay_alu instid0(VALU_DEP_3) | instskip(NEXT) | instid1(VALU_DEP_2)
	v_cndmask_b32_e64 v12, v12, 0x181, s0
	v_cmp_gt_f32_e64 s0, v17, v11
	s_delay_alu instid0(VALU_DEP_1) | instskip(NEXT) | instid1(VALU_DEP_3)
	v_cndmask_b32_e64 v11, v11, v17, s0
	v_cndmask_b32_e64 v13, v12, 0x182, s0
	s_delay_alu instid0(VALU_DEP_2) | instskip(NEXT) | instid1(VALU_DEP_1)
	v_cmp_gt_f32_e64 s0, v18, v11
	v_cndmask_b32_e64 v12, v11, v18, s0
	s_delay_alu instid0(VALU_DEP_3)
	v_cndmask_b32_e64 v11, v13, 0x183, s0
	ds_bpermute_b32 v13, v3, v12
	v_or_b32_e32 v11, v9, v11
	ds_bpermute_b32 v14, v3, v11
	s_waitcnt lgkmcnt(1)
	v_cmp_lt_f32_e64 s2, v12, v13
	v_cmpx_nlt_f32_e32 v12, v13
	s_cbranch_execz .LBB19_8
; %bb.7:                                ;   in Loop: Header=BB19_6 Depth=1
	v_cmp_eq_f32_e64 s0, v12, v13
	s_waitcnt lgkmcnt(0)
	v_cmp_lt_i32_e64 s1, v14, v11
	s_delay_alu instid0(VALU_DEP_1) | instskip(SKIP_2) | instid1(SALU_CYCLE_1)
	s_and_b32 s0, s0, s1
	s_and_not1_b32 s1, s2, exec_lo
	s_and_b32 s0, s0, exec_lo
	s_or_b32 s2, s1, s0
.LBB19_8:                               ;   in Loop: Header=BB19_6 Depth=1
	s_or_b32 exec_lo, exec_lo, s3
	s_delay_alu instid0(VALU_DEP_2)
	s_and_saveexec_b32 s0, s2
	s_cbranch_execz .LBB19_10
; %bb.9:                                ;   in Loop: Header=BB19_6 Depth=1
	s_waitcnt lgkmcnt(0)
	v_dual_mov_b32 v12, v13 :: v_dual_mov_b32 v11, v14
.LBB19_10:                              ;   in Loop: Header=BB19_6 Depth=1
	s_or_b32 exec_lo, exec_lo, s0
	s_waitcnt lgkmcnt(0)
	ds_bpermute_b32 v14, v4, v12
	ds_bpermute_b32 v13, v4, v11
	s_mov_b32 s3, exec_lo
	s_waitcnt lgkmcnt(1)
	v_cmp_lt_f32_e64 s2, v12, v14
	v_cmpx_nlt_f32_e32 v12, v14
	s_cbranch_execz .LBB19_12
; %bb.11:                               ;   in Loop: Header=BB19_6 Depth=1
	v_cmp_eq_f32_e64 s0, v12, v14
	s_waitcnt lgkmcnt(0)
	v_cmp_lt_i32_e64 s1, v13, v11
	s_delay_alu instid0(VALU_DEP_1) | instskip(SKIP_2) | instid1(SALU_CYCLE_1)
	s_and_b32 s0, s0, s1
	s_and_not1_b32 s1, s2, exec_lo
	s_and_b32 s0, s0, exec_lo
	s_or_b32 s2, s1, s0
.LBB19_12:                              ;   in Loop: Header=BB19_6 Depth=1
	s_or_b32 exec_lo, exec_lo, s3
	s_delay_alu instid0(VALU_DEP_2)
	s_and_saveexec_b32 s0, s2
	s_cbranch_execz .LBB19_14
; %bb.13:                               ;   in Loop: Header=BB19_6 Depth=1
	s_waitcnt lgkmcnt(0)
	v_dual_mov_b32 v12, v14 :: v_dual_mov_b32 v11, v13
.LBB19_14:                              ;   in Loop: Header=BB19_6 Depth=1
	s_or_b32 exec_lo, exec_lo, s0
	ds_bpermute_b32 v14, v5, v12
	s_waitcnt lgkmcnt(1)
	ds_bpermute_b32 v13, v5, v11
	s_mov_b32 s3, exec_lo
	s_waitcnt lgkmcnt(1)
	v_cmp_lt_f32_e64 s2, v12, v14
	v_cmpx_nlt_f32_e32 v12, v14
	s_cbranch_execz .LBB19_16
; %bb.15:                               ;   in Loop: Header=BB19_6 Depth=1
	v_cmp_eq_f32_e64 s0, v12, v14
	s_waitcnt lgkmcnt(0)
	v_cmp_lt_i32_e64 s1, v13, v11
	s_delay_alu instid0(VALU_DEP_1) | instskip(SKIP_2) | instid1(SALU_CYCLE_1)
	s_and_b32 s0, s0, s1
	s_and_not1_b32 s1, s2, exec_lo
	s_and_b32 s0, s0, exec_lo
	s_or_b32 s2, s1, s0
.LBB19_16:                              ;   in Loop: Header=BB19_6 Depth=1
	s_or_b32 exec_lo, exec_lo, s3
	s_delay_alu instid0(VALU_DEP_2)
	s_and_saveexec_b32 s0, s2
	s_cbranch_execz .LBB19_18
; %bb.17:                               ;   in Loop: Header=BB19_6 Depth=1
	s_waitcnt lgkmcnt(0)
	v_dual_mov_b32 v12, v14 :: v_dual_mov_b32 v11, v13
.LBB19_18:                              ;   in Loop: Header=BB19_6 Depth=1
	s_or_b32 exec_lo, exec_lo, s0
	ds_bpermute_b32 v14, v6, v12
	s_waitcnt lgkmcnt(1)
	ds_bpermute_b32 v13, v6, v11
	s_mov_b32 s3, exec_lo
	s_waitcnt lgkmcnt(1)
	v_cmp_lt_f32_e64 s2, v12, v14
	v_cmpx_nlt_f32_e32 v12, v14
	s_cbranch_execz .LBB19_20
; %bb.19:                               ;   in Loop: Header=BB19_6 Depth=1
	v_cmp_eq_f32_e64 s0, v12, v14
	s_waitcnt lgkmcnt(0)
	v_cmp_lt_i32_e64 s1, v13, v11
	s_delay_alu instid0(VALU_DEP_1) | instskip(SKIP_2) | instid1(SALU_CYCLE_1)
	s_and_b32 s0, s0, s1
	s_and_not1_b32 s1, s2, exec_lo
	s_and_b32 s0, s0, exec_lo
	s_or_b32 s2, s1, s0
.LBB19_20:                              ;   in Loop: Header=BB19_6 Depth=1
	s_or_b32 exec_lo, exec_lo, s3
	s_delay_alu instid0(VALU_DEP_2)
	s_and_saveexec_b32 s0, s2
	s_cbranch_execz .LBB19_22
; %bb.21:                               ;   in Loop: Header=BB19_6 Depth=1
	s_waitcnt lgkmcnt(0)
	v_dual_mov_b32 v12, v14 :: v_dual_mov_b32 v11, v13
.LBB19_22:                              ;   in Loop: Header=BB19_6 Depth=1
	s_or_b32 exec_lo, exec_lo, s0
	s_waitcnt lgkmcnt(0)
	ds_bpermute_b32 v13, v7, v12
	ds_bpermute_b32 v14, v7, v11
	s_mov_b32 s3, exec_lo
	s_waitcnt lgkmcnt(1)
	v_cmp_lt_f32_e64 s2, v12, v13
	v_cmpx_nlt_f32_e32 v12, v13
	s_cbranch_execnz .LBB19_28
; %bb.23:                               ;   in Loop: Header=BB19_6 Depth=1
	s_or_b32 exec_lo, exec_lo, s3
	s_delay_alu instid0(VALU_DEP_2)
	s_and_saveexec_b32 s0, s2
	s_cbranch_execnz .LBB19_29
.LBB19_24:                              ;   in Loop: Header=BB19_6 Depth=1
	s_or_b32 exec_lo, exec_lo, s0
	s_and_saveexec_b32 s2, vcc_lo
	s_cbranch_execz .LBB19_26
.LBB19_25:                              ;   in Loop: Header=BB19_6 Depth=1
	v_add_nc_u32_e32 v13, s7, v8
	v_cmp_le_i32_e64 s0, s5, v11
	v_cmp_gt_i32_e64 s1, s6, v11
	v_subrev_nc_u32_e32 v15, s5, v11
	s_waitcnt lgkmcnt(0)
	v_ashrrev_i32_e32 v14, 31, v13
	s_delay_alu instid0(VALU_DEP_3) | instskip(NEXT) | instid1(SALU_CYCLE_1)
	s_and_b32 s0, s0, s1
	s_and_b32 s0, s15, s0
	s_delay_alu instid0(VALU_DEP_1) | instskip(SKIP_1) | instid1(VALU_DEP_2)
	v_lshlrev_b64 v[13:14], 2, v[13:14]
	v_cndmask_b32_e64 v19, 0x200, v15, s0
	v_add_co_u32 v15, s0, s12, v13
	s_delay_alu instid0(VALU_DEP_1) | instskip(SKIP_1) | instid1(VALU_DEP_1)
	v_add_co_ci_u32_e64 v16, s0, s13, v14, s0
	v_add_co_u32 v17, s0, s8, v13
	v_add_co_ci_u32_e64 v18, s0, s9, v14, s0
	v_add_co_u32 v13, s0, s10, v13
	s_delay_alu instid0(VALU_DEP_1)
	v_add_co_ci_u32_e64 v14, s0, s11, v14, s0
	global_store_b32 v[15:16], v12, off
	global_store_b32 v[17:18], v19, off
	global_store_b32 v[13:14], v1, off
.LBB19_26:                              ;   in Loop: Header=BB19_6 Depth=1
	s_or_b32 exec_lo, exec_lo, s2
	v_ashrrev_i32_e32 v12, 31, v11
	s_add_i32 s7, s7, 1
	s_delay_alu instid0(SALU_CYCLE_1) | instskip(SKIP_1) | instid1(VALU_DEP_1)
	s_cmp_lt_i32 s7, s4
	s_cselect_b32 s1, -1, 0
	v_lshrrev_b32_e32 v13, 30, v12
	s_delay_alu instid0(VALU_DEP_1) | instskip(SKIP_1) | instid1(VALU_DEP_1)
	v_add_nc_u32_e32 v13, v11, v13
	s_waitcnt lgkmcnt(0)
	v_ashrrev_i32_e32 v14, 31, v13
	v_ashrrev_i32_e32 v13, 2, v13
	s_delay_alu instid0(VALU_DEP_2) | instskip(NEXT) | instid1(VALU_DEP_1)
	v_lshrrev_b32_e32 v14, 27, v14
	v_add_nc_u32_e32 v14, v13, v14
	s_delay_alu instid0(VALU_DEP_1) | instskip(NEXT) | instid1(VALU_DEP_1)
	v_and_b32_e32 v14, 0xffffffe0, v14
	v_sub_nc_u32_e32 v14, v13, v14
	s_delay_alu instid0(VALU_DEP_1) | instskip(NEXT) | instid1(VALU_DEP_1)
	v_cmp_eq_u32_e64 s0, v2, v14
	s_and_b32 s1, s1, s0
	s_delay_alu instid0(SALU_CYCLE_1)
	s_and_saveexec_b32 s0, s1
	s_cbranch_execz .LBB19_5
; %bb.27:                               ;   in Loop: Header=BB19_6 Depth=1
	v_lshrrev_b32_e32 v12, 25, v12
	v_lshlrev_b32_e32 v13, 2, v13
	s_delay_alu instid0(VALU_DEP_2) | instskip(NEXT) | instid1(VALU_DEP_2)
	v_add_nc_u32_e32 v12, v11, v12
	v_sub_nc_u32_e32 v11, v11, v13
	s_delay_alu instid0(VALU_DEP_2) | instskip(NEXT) | instid1(VALU_DEP_1)
	v_ashrrev_i32_e32 v12, 7, v12
	v_lshl_add_u32 v11, v12, 2, v11
	s_delay_alu instid0(VALU_DEP_1)
	v_lshl_add_u32 v11, v11, 2, v0
	ds_store_b32 v11, v10
	s_branch .LBB19_5
.LBB19_28:                              ;   in Loop: Header=BB19_6 Depth=1
	v_cmp_eq_f32_e64 s0, v12, v13
	s_waitcnt lgkmcnt(0)
	v_cmp_lt_i32_e64 s1, v14, v11
	s_delay_alu instid0(VALU_DEP_1) | instskip(SKIP_2) | instid1(SALU_CYCLE_1)
	s_and_b32 s0, s0, s1
	s_and_not1_b32 s1, s2, exec_lo
	s_and_b32 s0, s0, exec_lo
	s_or_b32 s2, s1, s0
	s_or_b32 exec_lo, exec_lo, s3
	s_and_saveexec_b32 s0, s2
	s_cbranch_execz .LBB19_24
.LBB19_29:                              ;   in Loop: Header=BB19_6 Depth=1
	s_waitcnt lgkmcnt(0)
	v_dual_mov_b32 v12, v13 :: v_dual_mov_b32 v11, v14
	s_or_b32 exec_lo, exec_lo, s0
	s_and_saveexec_b32 s2, vcc_lo
	s_cbranch_execnz .LBB19_25
	s_branch .LBB19_26
.LBB19_30:
	s_nop 0
	s_sendmsg sendmsg(MSG_DEALLOC_VGPRS)
	s_endpgm
	.section	.rodata,"a",@progbits
	.p2align	6, 0x0
	.amdhsa_kernel _ZN4vllm3moe17topkGatingSoftmaxILi16ELi512ELi4ELi16ELi32EiEEvPKfPKbPfiPT4_Piiii
		.amdhsa_group_segment_fixed_size 8192
		.amdhsa_private_segment_fixed_size 0
		.amdhsa_kernarg_size 60
		.amdhsa_user_sgpr_count 15
		.amdhsa_user_sgpr_dispatch_ptr 1
		.amdhsa_user_sgpr_queue_ptr 0
		.amdhsa_user_sgpr_kernarg_segment_ptr 1
		.amdhsa_user_sgpr_dispatch_id 0
		.amdhsa_user_sgpr_private_segment_size 0
		.amdhsa_wavefront_size32 1
		.amdhsa_uses_dynamic_stack 0
		.amdhsa_enable_private_segment 0
		.amdhsa_system_sgpr_workgroup_id_x 1
		.amdhsa_system_sgpr_workgroup_id_y 0
		.amdhsa_system_sgpr_workgroup_id_z 0
		.amdhsa_system_sgpr_workgroup_info 0
		.amdhsa_system_vgpr_workitem_id 2
		.amdhsa_next_free_vgpr 74
		.amdhsa_next_free_sgpr 16
		.amdhsa_reserve_vcc 1
		.amdhsa_float_round_mode_32 0
		.amdhsa_float_round_mode_16_64 0
		.amdhsa_float_denorm_mode_32 3
		.amdhsa_float_denorm_mode_16_64 3
		.amdhsa_dx10_clamp 1
		.amdhsa_ieee_mode 1
		.amdhsa_fp16_overflow 0
		.amdhsa_workgroup_processor_mode 1
		.amdhsa_memory_ordered 1
		.amdhsa_forward_progress 0
		.amdhsa_shared_vgpr_count 0
		.amdhsa_exception_fp_ieee_invalid_op 0
		.amdhsa_exception_fp_denorm_src 0
		.amdhsa_exception_fp_ieee_div_zero 0
		.amdhsa_exception_fp_ieee_overflow 0
		.amdhsa_exception_fp_ieee_underflow 0
		.amdhsa_exception_fp_ieee_inexact 0
		.amdhsa_exception_int_div_zero 0
	.end_amdhsa_kernel
	.section	.text._ZN4vllm3moe17topkGatingSoftmaxILi16ELi512ELi4ELi16ELi32EiEEvPKfPKbPfiPT4_Piiii,"axG",@progbits,_ZN4vllm3moe17topkGatingSoftmaxILi16ELi512ELi4ELi16ELi32EiEEvPKfPKbPfiPT4_Piiii,comdat
.Lfunc_end19:
	.size	_ZN4vllm3moe17topkGatingSoftmaxILi16ELi512ELi4ELi16ELi32EiEEvPKfPKbPfiPT4_Piiii, .Lfunc_end19-_ZN4vllm3moe17topkGatingSoftmaxILi16ELi512ELi4ELi16ELi32EiEEvPKfPKbPfiPT4_Piiii
                                        ; -- End function
	.section	.AMDGPU.csdata,"",@progbits
; Kernel info:
; codeLenInByte = 3968
; NumSgprs: 18
; NumVgprs: 74
; ScratchSize: 0
; MemoryBound: 0
; FloatMode: 240
; IeeeMode: 1
; LDSByteSize: 8192 bytes/workgroup (compile time only)
; SGPRBlocks: 2
; VGPRBlocks: 9
; NumSGPRsForWavesPerEU: 18
; NumVGPRsForWavesPerEU: 74
; Occupancy: 16
; WaveLimiterHint : 0
; COMPUTE_PGM_RSRC2:SCRATCH_EN: 0
; COMPUTE_PGM_RSRC2:USER_SGPR: 15
; COMPUTE_PGM_RSRC2:TRAP_HANDLER: 0
; COMPUTE_PGM_RSRC2:TGID_X_EN: 1
; COMPUTE_PGM_RSRC2:TGID_Y_EN: 0
; COMPUTE_PGM_RSRC2:TGID_Z_EN: 0
; COMPUTE_PGM_RSRC2:TIDIG_COMP_CNT: 2
	.section	.text._ZN4vllm3moe10moeSoftmaxILi256EEEvPKfPKbPfi,"axG",@progbits,_ZN4vllm3moe10moeSoftmaxILi256EEEvPKfPKbPfi,comdat
	.protected	_ZN4vllm3moe10moeSoftmaxILi256EEEvPKfPKbPfi ; -- Begin function _ZN4vllm3moe10moeSoftmaxILi256EEEvPKfPKbPfi
	.globl	_ZN4vllm3moe10moeSoftmaxILi256EEEvPKfPKbPfi
	.p2align	8
	.type	_ZN4vllm3moe10moeSoftmaxILi256EEEvPKfPKbPfi,@function
_ZN4vllm3moe10moeSoftmaxILi256EEEvPKfPKbPfi: ; @_ZN4vllm3moe10moeSoftmaxILi256EEEvPKfPKbPfi
; %bb.0:
	s_load_b128 s[8:11], s[0:1], 0x0
	s_waitcnt lgkmcnt(0)
	s_cmp_eq_u64 s[10:11], 0
	s_cselect_b32 s2, -1, 0
	s_delay_alu instid0(SALU_CYCLE_1)
	s_and_b32 vcc_lo, exec_lo, s2
	s_cbranch_vccnz .LBB20_2
; %bb.1:
	v_mov_b32_e32 v1, s15
	global_load_u8 v1, v1, s[10:11]
	s_waitcnt vmcnt(0)
	v_and_b32_e32 v1, 1, v1
	s_delay_alu instid0(VALU_DEP_1)
	v_cmp_eq_u32_e32 vcc_lo, 1, v1
	s_xor_b32 s2, vcc_lo, -1
.LBB20_2:
	s_delay_alu instid0(SALU_CYCLE_1)
	s_and_not1_b32 vcc_lo, exec_lo, s2
	s_cbranch_vccnz .LBB20_26
; %bb.3:
	s_clause 0x1
	s_load_b32 s5, s[0:1], 0x18
	s_load_b64 s[6:7], s[0:1], 0x10
	v_mov_b32_e32 v5, 0xff7fffff
	s_waitcnt lgkmcnt(0)
	s_mul_i32 s15, s15, s5
	v_cmp_gt_i32_e64 s0, s5, v0
	v_add_nc_u32_e32 v1, s15, v0
	s_delay_alu instid0(VALU_DEP_1) | instskip(NEXT) | instid1(VALU_DEP_3)
	v_ashrrev_i32_e32 v2, 31, v1
	s_and_saveexec_b32 s2, s0
	s_cbranch_execz .LBB20_7
; %bb.4:
	s_delay_alu instid0(VALU_DEP_1) | instskip(SKIP_2) | instid1(VALU_DEP_2)
	v_lshlrev_b64 v[3:4], 2, v[1:2]
	v_dual_mov_b32 v5, 0xff7fffff :: v_dual_mov_b32 v6, v0
	s_mov_b32 s3, 0
	v_add_co_u32 v3, vcc_lo, s8, v3
	s_delay_alu instid0(VALU_DEP_3)
	v_add_co_ci_u32_e32 v4, vcc_lo, s9, v4, vcc_lo
.LBB20_5:                               ; =>This Inner Loop Header: Depth=1
	global_load_b32 v7, v[3:4], off
	v_dual_max_f32 v5, v5, v5 :: v_dual_add_nc_u32 v6, 0x100, v6
	v_add_co_u32 v3, vcc_lo, 0x400, v3
	v_add_co_ci_u32_e32 v4, vcc_lo, 0, v4, vcc_lo
	s_delay_alu instid0(VALU_DEP_3) | instskip(NEXT) | instid1(VALU_DEP_1)
	v_cmp_le_i32_e64 s1, s5, v6
	s_or_b32 s3, s1, s3
	s_waitcnt vmcnt(0)
	v_max_f32_e32 v7, v7, v7
	s_delay_alu instid0(VALU_DEP_1)
	v_max_f32_e32 v5, v7, v5
	s_and_not1_b32 exec_lo, exec_lo, s3
	s_cbranch_execnz .LBB20_5
; %bb.6:
	s_or_b32 exec_lo, exec_lo, s3
.LBB20_7:
	s_delay_alu instid0(SALU_CYCLE_1) | instskip(SKIP_2) | instid1(VALU_DEP_2)
	s_or_b32 exec_lo, exec_lo, s2
	v_mov_b32_dpp v3, v5 quad_perm:[1,0,3,2] row_mask:0xf bank_mask:0xf
	v_lshrrev_b32_e32 v7, 3, v0
	v_cmp_gt_f32_e32 vcc_lo, v5, v3
	v_cndmask_b32_e32 v3, v3, v5, vcc_lo
	v_mbcnt_lo_u32_b32 v5, -1, 0
	s_delay_alu instid0(VALU_DEP_2) | instskip(NEXT) | instid1(VALU_DEP_1)
	v_mov_b32_dpp v4, v3 quad_perm:[2,3,0,1] row_mask:0xf bank_mask:0xf
	v_cmp_gt_f32_e32 vcc_lo, v3, v4
	v_cndmask_b32_e32 v3, v4, v3, vcc_lo
	s_delay_alu instid0(VALU_DEP_1) | instskip(NEXT) | instid1(VALU_DEP_1)
	v_mov_b32_dpp v4, v3 row_ror:4 row_mask:0xf bank_mask:0xf
	v_cmp_gt_f32_e32 vcc_lo, v3, v4
	v_cndmask_b32_e32 v3, v4, v3, vcc_lo
	s_delay_alu instid0(VALU_DEP_1) | instskip(NEXT) | instid1(VALU_DEP_1)
	v_mov_b32_dpp v4, v3 row_ror:8 row_mask:0xf bank_mask:0xf
	v_cmp_gt_f32_e32 vcc_lo, v3, v4
	v_cndmask_b32_e32 v3, v4, v3, vcc_lo
	ds_swizzle_b32 v4, v3 offset:swizzle(BROADCAST,32,15)
	s_waitcnt lgkmcnt(0)
	v_cmp_gt_f32_e32 vcc_lo, v3, v4
	v_dual_cndmask_b32 v3, v4, v3 :: v_dual_mov_b32 v4, 0
	v_cmp_eq_u32_e32 vcc_lo, 0, v5
	ds_bpermute_b32 v3, v4, v3 offset:124
	s_and_saveexec_b32 s1, vcc_lo
	s_cbranch_execz .LBB20_9
; %bb.8:
	v_and_b32_e32 v4, 28, v7
	s_waitcnt lgkmcnt(0)
	ds_store_b32 v4, v3
.LBB20_9:
	s_or_b32 exec_lo, exec_lo, s1
	v_cmp_gt_u32_e64 s1, 32, v0
	v_and_b32_e32 v6, 7, v5
	s_waitcnt lgkmcnt(0)
	s_barrier
	buffer_gl0_inv
	s_and_saveexec_b32 s3, s1
	s_cbranch_execz .LBB20_11
; %bb.10:
	v_lshlrev_b32_e32 v3, 2, v6
	v_cmp_ne_u32_e64 s2, 7, v6
	ds_load_b32 v3, v3
	v_add_co_ci_u32_e64 v4, s2, 0, v5, s2
	v_cmp_gt_u32_e64 s2, 6, v6
	s_delay_alu instid0(VALU_DEP_2) | instskip(NEXT) | instid1(VALU_DEP_2)
	v_lshlrev_b32_e32 v4, 2, v4
	v_cndmask_b32_e64 v8, 0, 1, s2
	s_delay_alu instid0(VALU_DEP_1) | instskip(NEXT) | instid1(VALU_DEP_1)
	v_lshlrev_b32_e32 v8, 1, v8
	v_add_lshl_u32 v8, v8, v5, 2
	s_waitcnt lgkmcnt(0)
	ds_bpermute_b32 v4, v4, v3
	s_waitcnt lgkmcnt(0)
	v_cmp_lt_f32_e64 s2, v3, v4
	s_delay_alu instid0(VALU_DEP_1) | instskip(SKIP_3) | instid1(VALU_DEP_1)
	v_cndmask_b32_e64 v3, v3, v4, s2
	v_cmp_gt_u32_e64 s2, 4, v6
	ds_bpermute_b32 v4, v8, v3
	v_cndmask_b32_e64 v8, 0, 1, s2
	v_lshlrev_b32_e32 v8, 2, v8
	s_delay_alu instid0(VALU_DEP_1) | instskip(SKIP_2) | instid1(VALU_DEP_1)
	v_add_lshl_u32 v8, v8, v5, 2
	s_waitcnt lgkmcnt(0)
	v_cmp_lt_f32_e64 s2, v3, v4
	v_cndmask_b32_e64 v3, v3, v4, s2
	ds_bpermute_b32 v4, v8, v3
	s_waitcnt lgkmcnt(0)
	v_cmp_lt_f32_e64 s2, v3, v4
	s_delay_alu instid0(VALU_DEP_1)
	v_cndmask_b32_e64 v3, v3, v4, s2
.LBB20_11:
	s_or_b32 exec_lo, exec_lo, s3
	v_cmp_eq_u32_e64 s2, 0, v0
	s_delay_alu instid0(VALU_DEP_1)
	s_and_saveexec_b32 s3, s2
	s_cbranch_execz .LBB20_13
; %bb.12:
	v_mov_b32_e32 v4, 0
	ds_store_b32 v4, v3 offset:36
.LBB20_13:
	s_or_b32 exec_lo, exec_lo, s3
	v_mov_b32_e32 v8, 0
	s_waitcnt lgkmcnt(0)
	s_barrier
	buffer_gl0_inv
	s_and_saveexec_b32 s10, s0
	s_cbranch_execz .LBB20_17
; %bb.14:
	v_mov_b32_e32 v8, 0
	v_lshlrev_b64 v[3:4], 2, v[1:2]
	v_mov_b32_e32 v10, v0
	s_mov_b32 s11, 0
	ds_load_b32 v9, v8 offset:36
	v_add_co_u32 v3, s3, s8, v3
	s_delay_alu instid0(VALU_DEP_1)
	v_add_co_ci_u32_e64 v4, s3, s9, v4, s3
	s_set_inst_prefetch_distance 0x1
	.p2align	6
.LBB20_15:                              ; =>This Inner Loop Header: Depth=1
	global_load_b32 v11, v[3:4], off
	v_add_nc_u32_e32 v10, 0x100, v10
	s_delay_alu instid0(VALU_DEP_1) | instskip(NEXT) | instid1(VALU_DEP_1)
	v_cmp_le_i32_e64 s4, s5, v10
	s_or_b32 s11, s4, s11
	s_waitcnt vmcnt(0) lgkmcnt(0)
	v_sub_f32_e32 v11, v11, v9
	s_delay_alu instid0(VALU_DEP_1) | instskip(NEXT) | instid1(VALU_DEP_1)
	v_mul_f32_e32 v12, 0x3fb8aa3b, v11
	v_fma_f32 v13, 0x3fb8aa3b, v11, -v12
	v_rndne_f32_e32 v14, v12
	s_delay_alu instid0(VALU_DEP_1) | instskip(SKIP_1) | instid1(VALU_DEP_2)
	v_dual_sub_f32 v12, v12, v14 :: v_dual_fmac_f32 v13, 0x32a5705f, v11
	v_cmp_ngt_f32_e64 s3, 0xc2ce8ed0, v11
	v_add_f32_e32 v12, v12, v13
	v_cvt_i32_f32_e32 v13, v14
	s_delay_alu instid0(VALU_DEP_2) | instskip(SKIP_2) | instid1(VALU_DEP_1)
	v_exp_f32_e32 v12, v12
	s_waitcnt_depctr 0xfff
	v_ldexp_f32 v12, v12, v13
	v_cndmask_b32_e64 v12, 0, v12, s3
	v_cmp_nlt_f32_e64 s3, 0x42b17218, v11
	s_delay_alu instid0(VALU_DEP_1) | instskip(SKIP_1) | instid1(VALU_DEP_1)
	v_cndmask_b32_e64 v11, 0x7f800000, v12, s3
	v_add_co_u32 v3, s3, 0x400, v3
	v_add_co_ci_u32_e64 v4, s3, 0, v4, s3
	s_delay_alu instid0(VALU_DEP_3)
	v_add_f32_e32 v8, v8, v11
	s_and_not1_b32 exec_lo, exec_lo, s11
	s_cbranch_execnz .LBB20_15
; %bb.16:
	s_set_inst_prefetch_distance 0x2
	s_or_b32 exec_lo, exec_lo, s11
.LBB20_17:
	s_delay_alu instid0(SALU_CYCLE_1) | instskip(SKIP_1) | instid1(VALU_DEP_1)
	s_or_b32 exec_lo, exec_lo, s10
	v_mov_b32_dpp v4, v8 quad_perm:[1,0,3,2] row_mask:0xf bank_mask:0xf
	v_dual_mov_b32 v3, 0x7c :: v_dual_add_f32 v4, v8, v4
	s_delay_alu instid0(VALU_DEP_1) | instskip(NEXT) | instid1(VALU_DEP_1)
	v_mov_b32_dpp v8, v4 quad_perm:[2,3,0,1] row_mask:0xf bank_mask:0xf
	v_add_f32_e32 v4, v4, v8
	s_delay_alu instid0(VALU_DEP_1) | instskip(NEXT) | instid1(VALU_DEP_1)
	v_mov_b32_dpp v8, v4 row_ror:4 row_mask:0xf bank_mask:0xf
	v_add_f32_e32 v4, v4, v8
	s_delay_alu instid0(VALU_DEP_1) | instskip(NEXT) | instid1(VALU_DEP_1)
	v_mov_b32_dpp v8, v4 row_ror:8 row_mask:0xf bank_mask:0xf
	v_add_f32_e32 v4, v4, v8
	ds_swizzle_b32 v8, v4 offset:swizzle(BROADCAST,32,15)
	s_waitcnt lgkmcnt(0)
	v_add_f32_e32 v4, v4, v8
	ds_bpermute_b32 v3, v3, v4
	s_and_saveexec_b32 s3, vcc_lo
	s_cbranch_execz .LBB20_19
; %bb.18:
	v_and_b32_e32 v4, 28, v7
	s_waitcnt lgkmcnt(0)
	ds_store_b32 v4, v3
.LBB20_19:
	s_or_b32 exec_lo, exec_lo, s3
	s_waitcnt lgkmcnt(0)
	s_barrier
	buffer_gl0_inv
	s_and_saveexec_b32 s3, s1
	s_cbranch_execz .LBB20_21
; %bb.20:
	v_lshlrev_b32_e32 v3, 2, v6
	v_cmp_ne_u32_e32 vcc_lo, 7, v6
	ds_load_b32 v3, v3
	v_add_co_ci_u32_e32 v4, vcc_lo, 0, v5, vcc_lo
	v_cmp_gt_u32_e32 vcc_lo, 6, v6
	s_delay_alu instid0(VALU_DEP_2) | instskip(SKIP_2) | instid1(VALU_DEP_2)
	v_lshlrev_b32_e32 v4, 2, v4
	v_cndmask_b32_e64 v7, 0, 1, vcc_lo
	v_cmp_gt_u32_e32 vcc_lo, 4, v6
	v_lshlrev_b32_e32 v7, 1, v7
	v_cndmask_b32_e64 v6, 0, 1, vcc_lo
	s_delay_alu instid0(VALU_DEP_2) | instskip(NEXT) | instid1(VALU_DEP_2)
	v_add_lshl_u32 v7, v7, v5, 2
	v_lshlrev_b32_e32 v6, 2, v6
	s_waitcnt lgkmcnt(0)
	ds_bpermute_b32 v4, v4, v3
	s_waitcnt lgkmcnt(0)
	v_add_f32_e32 v3, v3, v4
	ds_bpermute_b32 v4, v7, v3
	s_waitcnt lgkmcnt(0)
	v_add_f32_e32 v3, v3, v4
	v_add_lshl_u32 v4, v6, v5, 2
	ds_bpermute_b32 v4, v4, v3
	s_waitcnt lgkmcnt(0)
	v_add_f32_e32 v3, v3, v4
.LBB20_21:
	s_or_b32 exec_lo, exec_lo, s3
	s_and_saveexec_b32 s1, s2
	s_cbranch_execz .LBB20_23
; %bb.22:
	s_delay_alu instid0(VALU_DEP_1) | instskip(SKIP_1) | instid1(VALU_DEP_2)
	v_div_scale_f32 v4, null, v3, v3, 1.0
	v_div_scale_f32 v7, vcc_lo, 1.0, v3, 1.0
	v_rcp_f32_e32 v5, v4
	s_waitcnt_depctr 0xfff
	v_fma_f32 v6, -v4, v5, 1.0
	s_delay_alu instid0(VALU_DEP_1) | instskip(NEXT) | instid1(VALU_DEP_1)
	v_fmac_f32_e32 v5, v6, v5
	v_mul_f32_e32 v6, v7, v5
	s_delay_alu instid0(VALU_DEP_1) | instskip(NEXT) | instid1(VALU_DEP_1)
	v_fma_f32 v8, -v4, v6, v7
	v_fmac_f32_e32 v6, v8, v5
	s_delay_alu instid0(VALU_DEP_1) | instskip(NEXT) | instid1(VALU_DEP_1)
	v_fma_f32 v4, -v4, v6, v7
	v_div_fmas_f32 v4, v4, v5, v6
	s_delay_alu instid0(VALU_DEP_1)
	v_div_fixup_f32 v3, v4, v3, 1.0
	v_mov_b32_e32 v4, 0
	ds_store_b32 v4, v3 offset:32
.LBB20_23:
	s_or_b32 exec_lo, exec_lo, s1
	s_waitcnt lgkmcnt(0)
	s_barrier
	buffer_gl0_inv
	s_and_saveexec_b32 s1, s0
	s_cbranch_execz .LBB20_26
; %bb.24:
	v_mov_b32_e32 v3, 0
	v_lshlrev_b64 v[5:6], 2, v[1:2]
	s_mov_b32 s1, 0
	ds_load_b64 v[3:4], v3 offset:32
	v_add_co_u32 v1, vcc_lo, s8, v5
	v_add_co_ci_u32_e32 v2, vcc_lo, s9, v6, vcc_lo
	v_add_co_u32 v5, vcc_lo, s6, v5
	v_add_co_ci_u32_e32 v6, vcc_lo, s7, v6, vcc_lo
	s_set_inst_prefetch_distance 0x1
	.p2align	6
.LBB20_25:                              ; =>This Inner Loop Header: Depth=1
	global_load_b32 v7, v[1:2], off
	v_add_co_u32 v1, vcc_lo, 0x400, v1
	v_add_co_ci_u32_e32 v2, vcc_lo, 0, v2, vcc_lo
	s_waitcnt vmcnt(0) lgkmcnt(0)
	v_sub_f32_e32 v7, v7, v4
	s_delay_alu instid0(VALU_DEP_1) | instskip(NEXT) | instid1(VALU_DEP_1)
	v_mul_f32_e32 v8, 0x3fb8aa3b, v7
	v_fma_f32 v9, 0x3fb8aa3b, v7, -v8
	v_rndne_f32_e32 v10, v8
	s_delay_alu instid0(VALU_DEP_1) | instskip(SKIP_1) | instid1(VALU_DEP_2)
	v_dual_sub_f32 v8, v8, v10 :: v_dual_fmac_f32 v9, 0x32a5705f, v7
	v_cmp_ngt_f32_e64 s0, 0xc2ce8ed0, v7
	v_add_f32_e32 v8, v8, v9
	v_cvt_i32_f32_e32 v9, v10
	s_delay_alu instid0(VALU_DEP_2) | instskip(SKIP_2) | instid1(VALU_DEP_1)
	v_exp_f32_e32 v8, v8
	s_waitcnt_depctr 0xfff
	v_ldexp_f32 v8, v8, v9
	v_cndmask_b32_e64 v8, 0, v8, s0
	v_cmp_nlt_f32_e64 s0, 0x42b17218, v7
	s_delay_alu instid0(VALU_DEP_1) | instskip(NEXT) | instid1(VALU_DEP_1)
	v_cndmask_b32_e64 v7, 0x7f800000, v8, s0
	v_dual_mul_f32 v7, v3, v7 :: v_dual_add_nc_u32 v0, 0x100, v0
	s_delay_alu instid0(VALU_DEP_1) | instskip(SKIP_2) | instid1(VALU_DEP_1)
	v_cmp_le_i32_e32 vcc_lo, s5, v0
	global_store_b32 v[5:6], v7, off
	v_add_co_u32 v5, s0, 0x400, v5
	v_add_co_ci_u32_e64 v6, s0, 0, v6, s0
	s_or_b32 s1, vcc_lo, s1
	s_delay_alu instid0(SALU_CYCLE_1)
	s_and_not1_b32 exec_lo, exec_lo, s1
	s_cbranch_execnz .LBB20_25
.LBB20_26:
	s_set_inst_prefetch_distance 0x2
	s_nop 0
	s_sendmsg sendmsg(MSG_DEALLOC_VGPRS)
	s_endpgm
	.section	.rodata,"a",@progbits
	.p2align	6, 0x0
	.amdhsa_kernel _ZN4vllm3moe10moeSoftmaxILi256EEEvPKfPKbPfi
		.amdhsa_group_segment_fixed_size 40
		.amdhsa_private_segment_fixed_size 0
		.amdhsa_kernarg_size 28
		.amdhsa_user_sgpr_count 15
		.amdhsa_user_sgpr_dispatch_ptr 0
		.amdhsa_user_sgpr_queue_ptr 0
		.amdhsa_user_sgpr_kernarg_segment_ptr 1
		.amdhsa_user_sgpr_dispatch_id 0
		.amdhsa_user_sgpr_private_segment_size 0
		.amdhsa_wavefront_size32 1
		.amdhsa_uses_dynamic_stack 0
		.amdhsa_enable_private_segment 0
		.amdhsa_system_sgpr_workgroup_id_x 1
		.amdhsa_system_sgpr_workgroup_id_y 0
		.amdhsa_system_sgpr_workgroup_id_z 0
		.amdhsa_system_sgpr_workgroup_info 0
		.amdhsa_system_vgpr_workitem_id 0
		.amdhsa_next_free_vgpr 15
		.amdhsa_next_free_sgpr 16
		.amdhsa_reserve_vcc 1
		.amdhsa_float_round_mode_32 0
		.amdhsa_float_round_mode_16_64 0
		.amdhsa_float_denorm_mode_32 3
		.amdhsa_float_denorm_mode_16_64 3
		.amdhsa_dx10_clamp 1
		.amdhsa_ieee_mode 1
		.amdhsa_fp16_overflow 0
		.amdhsa_workgroup_processor_mode 1
		.amdhsa_memory_ordered 1
		.amdhsa_forward_progress 0
		.amdhsa_shared_vgpr_count 0
		.amdhsa_exception_fp_ieee_invalid_op 0
		.amdhsa_exception_fp_denorm_src 0
		.amdhsa_exception_fp_ieee_div_zero 0
		.amdhsa_exception_fp_ieee_overflow 0
		.amdhsa_exception_fp_ieee_underflow 0
		.amdhsa_exception_fp_ieee_inexact 0
		.amdhsa_exception_int_div_zero 0
	.end_amdhsa_kernel
	.section	.text._ZN4vllm3moe10moeSoftmaxILi256EEEvPKfPKbPfi,"axG",@progbits,_ZN4vllm3moe10moeSoftmaxILi256EEEvPKfPKbPfi,comdat
.Lfunc_end20:
	.size	_ZN4vllm3moe10moeSoftmaxILi256EEEvPKfPKbPfi, .Lfunc_end20-_ZN4vllm3moe10moeSoftmaxILi256EEEvPKfPKbPfi
                                        ; -- End function
	.section	.AMDGPU.csdata,"",@progbits
; Kernel info:
; codeLenInByte = 1696
; NumSgprs: 18
; NumVgprs: 15
; ScratchSize: 0
; MemoryBound: 0
; FloatMode: 240
; IeeeMode: 1
; LDSByteSize: 40 bytes/workgroup (compile time only)
; SGPRBlocks: 2
; VGPRBlocks: 1
; NumSGPRsForWavesPerEU: 18
; NumVGPRsForWavesPerEU: 15
; Occupancy: 16
; WaveLimiterHint : 0
; COMPUTE_PGM_RSRC2:SCRATCH_EN: 0
; COMPUTE_PGM_RSRC2:USER_SGPR: 15
; COMPUTE_PGM_RSRC2:TRAP_HANDLER: 0
; COMPUTE_PGM_RSRC2:TGID_X_EN: 1
; COMPUTE_PGM_RSRC2:TGID_Y_EN: 0
; COMPUTE_PGM_RSRC2:TGID_Z_EN: 0
; COMPUTE_PGM_RSRC2:TIDIG_COMP_CNT: 0
	.text
	.p2align	2                               ; -- Begin function __ockl_fprintf_append_string_n
	.type	__ockl_fprintf_append_string_n,@function
__ockl_fprintf_append_string_n:         ; @__ockl_fprintf_append_string_n
; %bb.0:
	s_waitcnt vmcnt(0) expcnt(0) lgkmcnt(0)
	v_dual_mov_b32 v8, v3 :: v_dual_mov_b32 v7, v2
	v_or_b32_e32 v2, 2, v0
	v_cmp_eq_u32_e32 vcc_lo, 0, v6
	v_mbcnt_lo_u32_b32 v33, -1, 0
	s_mov_b32 s11, 0
	s_mov_b32 s0, exec_lo
	v_cndmask_b32_e32 v0, v2, v0, vcc_lo
	v_cmpx_ne_u64_e32 0, v[7:8]
	s_xor_b32 s10, exec_lo, s0
	s_cbranch_execz .LBB21_86
; %bb.1:
	s_load_b64 s[2:3], s[8:9], 0x50
	v_dual_mov_b32 v11, 2 :: v_dual_and_b32 v6, 2, v0
	v_mov_b32_e32 v10, 0
	v_and_b32_e32 v0, -3, v0
	v_mov_b32_e32 v12, 1
	s_mov_b32 s12, 0
	s_branch .LBB21_3
.LBB21_2:                               ;   in Loop: Header=BB21_3 Depth=1
	s_or_b32 exec_lo, exec_lo, s1
	v_sub_co_u32 v4, vcc_lo, v4, v29
	v_sub_co_ci_u32_e32 v5, vcc_lo, v5, v30, vcc_lo
	v_add_co_u32 v7, s0, v7, v29
	s_delay_alu instid0(VALU_DEP_1) | instskip(NEXT) | instid1(VALU_DEP_3)
	v_add_co_ci_u32_e64 v8, s0, v8, v30, s0
	v_cmp_eq_u64_e32 vcc_lo, 0, v[4:5]
	s_or_b32 s12, vcc_lo, s12
	s_delay_alu instid0(SALU_CYCLE_1)
	s_and_not1_b32 exec_lo, exec_lo, s12
	s_cbranch_execz .LBB21_85
.LBB21_3:                               ; =>This Loop Header: Depth=1
                                        ;     Child Loop BB21_6 Depth 2
                                        ;     Child Loop BB21_14 Depth 2
	;; [unrolled: 1-line block ×11, first 2 shown]
	v_cmp_gt_u64_e32 vcc_lo, 56, v[4:5]
	s_mov_b32 s1, exec_lo
                                        ; implicit-def: $vgpr2_vgpr3
                                        ; implicit-def: $sgpr4
	v_dual_cndmask_b32 v30, 0, v5 :: v_dual_cndmask_b32 v29, 56, v4
	v_cmpx_gt_u64_e32 8, v[4:5]
	s_xor_b32 s1, exec_lo, s1
	s_cbranch_execz .LBB21_9
; %bb.4:                                ;   in Loop: Header=BB21_3 Depth=1
	s_waitcnt vmcnt(0)
	v_mov_b32_e32 v2, 0
	v_mov_b32_e32 v3, 0
	s_mov_b64 s[4:5], 0
	s_mov_b32 s6, exec_lo
	v_cmpx_ne_u64_e32 0, v[4:5]
	s_cbranch_execz .LBB21_8
; %bb.5:                                ;   in Loop: Header=BB21_3 Depth=1
	v_lshlrev_b64 v[13:14], 3, v[29:30]
	v_dual_mov_b32 v2, 0 :: v_dual_mov_b32 v15, v8
	v_dual_mov_b32 v3, 0 :: v_dual_mov_b32 v14, v7
	s_mov_b32 s7, 0
	.p2align	6
.LBB21_6:                               ;   Parent Loop BB21_3 Depth=1
                                        ; =>  This Inner Loop Header: Depth=2
	flat_load_u8 v9, v[14:15]
	v_mov_b32_e32 v17, s11
	v_add_co_u32 v14, vcc_lo, v14, 1
	v_add_co_ci_u32_e32 v15, vcc_lo, 0, v15, vcc_lo
	s_waitcnt vmcnt(0) lgkmcnt(0)
	v_and_b32_e32 v16, 0xffff, v9
	s_delay_alu instid0(VALU_DEP_1) | instskip(SKIP_3) | instid1(VALU_DEP_2)
	v_lshlrev_b64 v[16:17], s4, v[16:17]
	s_add_u32 s4, s4, 8
	s_addc_u32 s5, s5, 0
	v_cmp_eq_u32_e64 s0, s4, v13
	v_or_b32_e32 v3, v17, v3
	s_delay_alu instid0(VALU_DEP_3) | instskip(NEXT) | instid1(VALU_DEP_3)
	v_or_b32_e32 v2, v16, v2
	s_or_b32 s7, s0, s7
	s_delay_alu instid0(SALU_CYCLE_1)
	s_and_not1_b32 exec_lo, exec_lo, s7
	s_cbranch_execnz .LBB21_6
; %bb.7:                                ;   in Loop: Header=BB21_3 Depth=1
	s_or_b32 exec_lo, exec_lo, s7
.LBB21_8:                               ;   in Loop: Header=BB21_3 Depth=1
	s_delay_alu instid0(SALU_CYCLE_1)
	s_or_b32 exec_lo, exec_lo, s6
	s_mov_b32 s4, 0
.LBB21_9:                               ;   in Loop: Header=BB21_3 Depth=1
	s_or_saveexec_b32 s0, s1
	v_dual_mov_b32 v9, s4 :: v_dual_mov_b32 v26, v8
	v_mov_b32_e32 v25, v7
	s_xor_b32 exec_lo, exec_lo, s0
	s_cbranch_execz .LBB21_11
; %bb.10:                               ;   in Loop: Header=BB21_3 Depth=1
	s_waitcnt vmcnt(0)
	flat_load_b64 v[2:3], v[7:8]
	v_add_co_u32 v25, vcc_lo, v7, 8
	v_add_co_ci_u32_e32 v26, vcc_lo, 0, v8, vcc_lo
	s_waitcnt vmcnt(0) lgkmcnt(0)
	v_and_b32_e32 v9, 0xff, v3
	v_and_b32_e32 v13, 0xff00, v3
	;; [unrolled: 1-line block ×4, first 2 shown]
	v_or3_b32 v2, v2, 0, 0
	s_delay_alu instid0(VALU_DEP_4) | instskip(SKIP_1) | instid1(VALU_DEP_2)
	v_or_b32_e32 v13, v9, v13
	v_add_nc_u32_e32 v9, -8, v29
	v_or3_b32 v3, v13, v14, v3
.LBB21_11:                              ;   in Loop: Header=BB21_3 Depth=1
	s_or_b32 exec_lo, exec_lo, s0
                                        ; implicit-def: $vgpr13_vgpr14
                                        ; implicit-def: $sgpr1
	s_delay_alu instid0(SALU_CYCLE_1) | instskip(NEXT) | instid1(VALU_DEP_2)
	s_mov_b32 s0, exec_lo
	v_cmpx_gt_u32_e32 8, v9
	s_xor_b32 s6, exec_lo, s0
	s_cbranch_execz .LBB21_17
; %bb.12:                               ;   in Loop: Header=BB21_3 Depth=1
	v_mov_b32_e32 v13, 0
	v_mov_b32_e32 v14, 0
	s_mov_b32 s7, exec_lo
	v_cmpx_ne_u32_e32 0, v9
	s_cbranch_execz .LBB21_16
; %bb.13:                               ;   in Loop: Header=BB21_3 Depth=1
	v_mov_b32_e32 v13, 0
	v_mov_b32_e32 v14, 0
	s_mov_b64 s[0:1], 0
	s_mov_b32 s13, 0
	s_mov_b64 s[4:5], 0
	.p2align	6
.LBB21_14:                              ;   Parent Loop BB21_3 Depth=1
                                        ; =>  This Inner Loop Header: Depth=2
	s_delay_alu instid0(SALU_CYCLE_1)
	v_add_co_u32 v15, vcc_lo, v25, s4
	v_add_co_ci_u32_e32 v16, vcc_lo, s5, v26, vcc_lo
	s_add_u32 s4, s4, 1
	s_addc_u32 s5, s5, 0
	v_cmp_eq_u32_e32 vcc_lo, s4, v9
	flat_load_u8 v15, v[15:16]
	s_waitcnt vmcnt(0) lgkmcnt(0)
	v_dual_mov_b32 v16, s11 :: v_dual_and_b32 v15, 0xffff, v15
	s_delay_alu instid0(VALU_DEP_1) | instskip(SKIP_3) | instid1(VALU_DEP_1)
	v_lshlrev_b64 v[15:16], s0, v[15:16]
	s_add_u32 s0, s0, 8
	s_addc_u32 s1, s1, 0
	s_or_b32 s13, vcc_lo, s13
	v_or_b32_e32 v14, v16, v14
	s_delay_alu instid0(VALU_DEP_2)
	v_or_b32_e32 v13, v15, v13
	s_and_not1_b32 exec_lo, exec_lo, s13
	s_cbranch_execnz .LBB21_14
; %bb.15:                               ;   in Loop: Header=BB21_3 Depth=1
	s_or_b32 exec_lo, exec_lo, s13
.LBB21_16:                              ;   in Loop: Header=BB21_3 Depth=1
	s_delay_alu instid0(SALU_CYCLE_1)
	s_or_b32 exec_lo, exec_lo, s7
	s_mov_b32 s1, 0
                                        ; implicit-def: $vgpr9
.LBB21_17:                              ;   in Loop: Header=BB21_3 Depth=1
	s_or_saveexec_b32 s0, s6
	v_mov_b32_e32 v17, s1
	s_xor_b32 exec_lo, exec_lo, s0
	s_cbranch_execz .LBB21_19
; %bb.18:                               ;   in Loop: Header=BB21_3 Depth=1
	flat_load_b64 v[13:14], v[25:26]
	v_add_co_u32 v25, vcc_lo, v25, 8
	v_add_nc_u32_e32 v17, -8, v9
	v_add_co_ci_u32_e32 v26, vcc_lo, 0, v26, vcc_lo
	s_waitcnt vmcnt(0) lgkmcnt(0)
	v_and_b32_e32 v15, 0xff, v14
	v_and_b32_e32 v16, 0xff00, v14
	;; [unrolled: 1-line block ×4, first 2 shown]
	v_or3_b32 v13, v13, 0, 0
	s_delay_alu instid0(VALU_DEP_4) | instskip(NEXT) | instid1(VALU_DEP_1)
	v_or_b32_e32 v15, v15, v16
	v_or3_b32 v14, v15, v18, v14
.LBB21_19:                              ;   in Loop: Header=BB21_3 Depth=1
	s_or_b32 exec_lo, exec_lo, s0
                                        ; implicit-def: $sgpr1
	s_delay_alu instid0(SALU_CYCLE_1)
	s_mov_b32 s0, exec_lo
	v_cmpx_gt_u32_e32 8, v17
	s_xor_b32 s6, exec_lo, s0
	s_cbranch_execz .LBB21_25
; %bb.20:                               ;   in Loop: Header=BB21_3 Depth=1
	v_mov_b32_e32 v15, 0
	v_mov_b32_e32 v16, 0
	s_mov_b32 s7, exec_lo
	v_cmpx_ne_u32_e32 0, v17
	s_cbranch_execz .LBB21_24
; %bb.21:                               ;   in Loop: Header=BB21_3 Depth=1
	v_mov_b32_e32 v15, 0
	v_mov_b32_e32 v16, 0
	s_mov_b64 s[0:1], 0
	s_mov_b32 s13, 0
	s_mov_b64 s[4:5], 0
	.p2align	6
.LBB21_22:                              ;   Parent Loop BB21_3 Depth=1
                                        ; =>  This Inner Loop Header: Depth=2
	s_delay_alu instid0(SALU_CYCLE_1)
	v_add_co_u32 v18, vcc_lo, v25, s4
	v_add_co_ci_u32_e32 v19, vcc_lo, s5, v26, vcc_lo
	s_add_u32 s4, s4, 1
	s_addc_u32 s5, s5, 0
	v_cmp_eq_u32_e32 vcc_lo, s4, v17
	flat_load_u8 v9, v[18:19]
	s_waitcnt vmcnt(0) lgkmcnt(0)
	v_dual_mov_b32 v19, s11 :: v_dual_and_b32 v18, 0xffff, v9
	s_delay_alu instid0(VALU_DEP_1) | instskip(SKIP_3) | instid1(VALU_DEP_1)
	v_lshlrev_b64 v[18:19], s0, v[18:19]
	s_add_u32 s0, s0, 8
	s_addc_u32 s1, s1, 0
	s_or_b32 s13, vcc_lo, s13
	v_or_b32_e32 v16, v19, v16
	s_delay_alu instid0(VALU_DEP_2)
	v_or_b32_e32 v15, v18, v15
	s_and_not1_b32 exec_lo, exec_lo, s13
	s_cbranch_execnz .LBB21_22
; %bb.23:                               ;   in Loop: Header=BB21_3 Depth=1
	s_or_b32 exec_lo, exec_lo, s13
.LBB21_24:                              ;   in Loop: Header=BB21_3 Depth=1
	s_delay_alu instid0(SALU_CYCLE_1)
	s_or_b32 exec_lo, exec_lo, s7
	s_mov_b32 s1, 0
                                        ; implicit-def: $vgpr17
.LBB21_25:                              ;   in Loop: Header=BB21_3 Depth=1
	s_or_saveexec_b32 s0, s6
	v_mov_b32_e32 v9, s1
	s_xor_b32 exec_lo, exec_lo, s0
	s_cbranch_execz .LBB21_27
; %bb.26:                               ;   in Loop: Header=BB21_3 Depth=1
	flat_load_b64 v[15:16], v[25:26]
	v_add_co_u32 v25, vcc_lo, v25, 8
	v_add_co_ci_u32_e32 v26, vcc_lo, 0, v26, vcc_lo
	s_waitcnt vmcnt(0) lgkmcnt(0)
	v_and_b32_e32 v9, 0xff, v16
	v_and_b32_e32 v18, 0xff00, v16
	;; [unrolled: 1-line block ×4, first 2 shown]
	v_or3_b32 v15, v15, 0, 0
	s_delay_alu instid0(VALU_DEP_4) | instskip(SKIP_1) | instid1(VALU_DEP_2)
	v_or_b32_e32 v18, v9, v18
	v_add_nc_u32_e32 v9, -8, v17
	v_or3_b32 v16, v18, v19, v16
.LBB21_27:                              ;   in Loop: Header=BB21_3 Depth=1
	s_or_b32 exec_lo, exec_lo, s0
                                        ; implicit-def: $vgpr17_vgpr18
                                        ; implicit-def: $sgpr1
	s_delay_alu instid0(SALU_CYCLE_1) | instskip(NEXT) | instid1(VALU_DEP_1)
	s_mov_b32 s0, exec_lo
	v_cmpx_gt_u32_e32 8, v9
	s_xor_b32 s6, exec_lo, s0
	s_cbranch_execz .LBB21_33
; %bb.28:                               ;   in Loop: Header=BB21_3 Depth=1
	v_mov_b32_e32 v17, 0
	v_mov_b32_e32 v18, 0
	s_mov_b32 s7, exec_lo
	v_cmpx_ne_u32_e32 0, v9
	s_cbranch_execz .LBB21_32
; %bb.29:                               ;   in Loop: Header=BB21_3 Depth=1
	v_mov_b32_e32 v17, 0
	v_mov_b32_e32 v18, 0
	s_mov_b64 s[0:1], 0
	s_mov_b32 s13, 0
	s_mov_b64 s[4:5], 0
	.p2align	6
.LBB21_30:                              ;   Parent Loop BB21_3 Depth=1
                                        ; =>  This Inner Loop Header: Depth=2
	s_delay_alu instid0(SALU_CYCLE_1)
	v_add_co_u32 v19, vcc_lo, v25, s4
	v_add_co_ci_u32_e32 v20, vcc_lo, s5, v26, vcc_lo
	s_add_u32 s4, s4, 1
	s_addc_u32 s5, s5, 0
	v_cmp_eq_u32_e32 vcc_lo, s4, v9
	flat_load_u8 v19, v[19:20]
	s_waitcnt vmcnt(0) lgkmcnt(0)
	v_dual_mov_b32 v20, s11 :: v_dual_and_b32 v19, 0xffff, v19
	s_delay_alu instid0(VALU_DEP_1) | instskip(SKIP_3) | instid1(VALU_DEP_1)
	v_lshlrev_b64 v[19:20], s0, v[19:20]
	s_add_u32 s0, s0, 8
	s_addc_u32 s1, s1, 0
	s_or_b32 s13, vcc_lo, s13
	v_or_b32_e32 v18, v20, v18
	s_delay_alu instid0(VALU_DEP_2)
	v_or_b32_e32 v17, v19, v17
	s_and_not1_b32 exec_lo, exec_lo, s13
	s_cbranch_execnz .LBB21_30
; %bb.31:                               ;   in Loop: Header=BB21_3 Depth=1
	s_or_b32 exec_lo, exec_lo, s13
.LBB21_32:                              ;   in Loop: Header=BB21_3 Depth=1
	s_delay_alu instid0(SALU_CYCLE_1)
	s_or_b32 exec_lo, exec_lo, s7
	s_mov_b32 s1, 0
                                        ; implicit-def: $vgpr9
.LBB21_33:                              ;   in Loop: Header=BB21_3 Depth=1
	s_or_saveexec_b32 s0, s6
	v_mov_b32_e32 v21, s1
	s_xor_b32 exec_lo, exec_lo, s0
	s_cbranch_execz .LBB21_35
; %bb.34:                               ;   in Loop: Header=BB21_3 Depth=1
	flat_load_b64 v[17:18], v[25:26]
	v_add_co_u32 v25, vcc_lo, v25, 8
	v_add_nc_u32_e32 v21, -8, v9
	v_add_co_ci_u32_e32 v26, vcc_lo, 0, v26, vcc_lo
	s_waitcnt vmcnt(0) lgkmcnt(0)
	v_and_b32_e32 v19, 0xff, v18
	v_and_b32_e32 v20, 0xff00, v18
	;; [unrolled: 1-line block ×4, first 2 shown]
	v_or3_b32 v17, v17, 0, 0
	s_delay_alu instid0(VALU_DEP_4) | instskip(NEXT) | instid1(VALU_DEP_1)
	v_or_b32_e32 v19, v19, v20
	v_or3_b32 v18, v19, v22, v18
.LBB21_35:                              ;   in Loop: Header=BB21_3 Depth=1
	s_or_b32 exec_lo, exec_lo, s0
                                        ; implicit-def: $sgpr1
	s_delay_alu instid0(SALU_CYCLE_1)
	s_mov_b32 s0, exec_lo
	v_cmpx_gt_u32_e32 8, v21
	s_xor_b32 s6, exec_lo, s0
	s_cbranch_execz .LBB21_41
; %bb.36:                               ;   in Loop: Header=BB21_3 Depth=1
	v_mov_b32_e32 v19, 0
	v_mov_b32_e32 v20, 0
	s_mov_b32 s7, exec_lo
	v_cmpx_ne_u32_e32 0, v21
	s_cbranch_execz .LBB21_40
; %bb.37:                               ;   in Loop: Header=BB21_3 Depth=1
	v_mov_b32_e32 v19, 0
	v_mov_b32_e32 v20, 0
	s_mov_b64 s[0:1], 0
	s_mov_b32 s13, 0
	s_mov_b64 s[4:5], 0
	.p2align	6
.LBB21_38:                              ;   Parent Loop BB21_3 Depth=1
                                        ; =>  This Inner Loop Header: Depth=2
	s_delay_alu instid0(SALU_CYCLE_1)
	v_add_co_u32 v22, vcc_lo, v25, s4
	v_add_co_ci_u32_e32 v23, vcc_lo, s5, v26, vcc_lo
	s_add_u32 s4, s4, 1
	s_addc_u32 s5, s5, 0
	v_cmp_eq_u32_e32 vcc_lo, s4, v21
	flat_load_u8 v9, v[22:23]
	s_waitcnt vmcnt(0) lgkmcnt(0)
	v_dual_mov_b32 v23, s11 :: v_dual_and_b32 v22, 0xffff, v9
	s_delay_alu instid0(VALU_DEP_1) | instskip(SKIP_3) | instid1(VALU_DEP_1)
	v_lshlrev_b64 v[22:23], s0, v[22:23]
	s_add_u32 s0, s0, 8
	s_addc_u32 s1, s1, 0
	s_or_b32 s13, vcc_lo, s13
	v_or_b32_e32 v20, v23, v20
	s_delay_alu instid0(VALU_DEP_2)
	v_or_b32_e32 v19, v22, v19
	s_and_not1_b32 exec_lo, exec_lo, s13
	s_cbranch_execnz .LBB21_38
; %bb.39:                               ;   in Loop: Header=BB21_3 Depth=1
	s_or_b32 exec_lo, exec_lo, s13
.LBB21_40:                              ;   in Loop: Header=BB21_3 Depth=1
	s_delay_alu instid0(SALU_CYCLE_1)
	s_or_b32 exec_lo, exec_lo, s7
	s_mov_b32 s1, 0
                                        ; implicit-def: $vgpr21
.LBB21_41:                              ;   in Loop: Header=BB21_3 Depth=1
	s_or_saveexec_b32 s0, s6
	v_mov_b32_e32 v9, s1
	s_xor_b32 exec_lo, exec_lo, s0
	s_cbranch_execz .LBB21_43
; %bb.42:                               ;   in Loop: Header=BB21_3 Depth=1
	flat_load_b64 v[19:20], v[25:26]
	v_add_co_u32 v25, vcc_lo, v25, 8
	v_add_co_ci_u32_e32 v26, vcc_lo, 0, v26, vcc_lo
	s_waitcnt vmcnt(0) lgkmcnt(0)
	v_and_b32_e32 v9, 0xff, v20
	v_and_b32_e32 v22, 0xff00, v20
	;; [unrolled: 1-line block ×4, first 2 shown]
	v_or3_b32 v19, v19, 0, 0
	s_delay_alu instid0(VALU_DEP_4) | instskip(SKIP_1) | instid1(VALU_DEP_2)
	v_or_b32_e32 v22, v9, v22
	v_add_nc_u32_e32 v9, -8, v21
	v_or3_b32 v20, v22, v23, v20
.LBB21_43:                              ;   in Loop: Header=BB21_3 Depth=1
	s_or_b32 exec_lo, exec_lo, s0
                                        ; implicit-def: $vgpr21_vgpr22
                                        ; implicit-def: $sgpr1
	s_delay_alu instid0(SALU_CYCLE_1) | instskip(NEXT) | instid1(VALU_DEP_1)
	s_mov_b32 s0, exec_lo
	v_cmpx_gt_u32_e32 8, v9
	s_xor_b32 s6, exec_lo, s0
	s_cbranch_execz .LBB21_49
; %bb.44:                               ;   in Loop: Header=BB21_3 Depth=1
	v_mov_b32_e32 v21, 0
	v_mov_b32_e32 v22, 0
	s_mov_b32 s7, exec_lo
	v_cmpx_ne_u32_e32 0, v9
	s_cbranch_execz .LBB21_48
; %bb.45:                               ;   in Loop: Header=BB21_3 Depth=1
	v_mov_b32_e32 v21, 0
	v_mov_b32_e32 v22, 0
	s_mov_b64 s[0:1], 0
	s_mov_b32 s13, 0
	s_mov_b64 s[4:5], 0
	.p2align	6
.LBB21_46:                              ;   Parent Loop BB21_3 Depth=1
                                        ; =>  This Inner Loop Header: Depth=2
	s_delay_alu instid0(SALU_CYCLE_1)
	v_add_co_u32 v23, vcc_lo, v25, s4
	v_add_co_ci_u32_e32 v24, vcc_lo, s5, v26, vcc_lo
	s_add_u32 s4, s4, 1
	s_addc_u32 s5, s5, 0
	v_cmp_eq_u32_e32 vcc_lo, s4, v9
	flat_load_u8 v23, v[23:24]
	s_waitcnt vmcnt(0) lgkmcnt(0)
	v_dual_mov_b32 v24, s11 :: v_dual_and_b32 v23, 0xffff, v23
	s_delay_alu instid0(VALU_DEP_1) | instskip(SKIP_3) | instid1(VALU_DEP_1)
	v_lshlrev_b64 v[23:24], s0, v[23:24]
	s_add_u32 s0, s0, 8
	s_addc_u32 s1, s1, 0
	s_or_b32 s13, vcc_lo, s13
	v_or_b32_e32 v22, v24, v22
	s_delay_alu instid0(VALU_DEP_2)
	v_or_b32_e32 v21, v23, v21
	s_and_not1_b32 exec_lo, exec_lo, s13
	s_cbranch_execnz .LBB21_46
; %bb.47:                               ;   in Loop: Header=BB21_3 Depth=1
	s_or_b32 exec_lo, exec_lo, s13
.LBB21_48:                              ;   in Loop: Header=BB21_3 Depth=1
	s_delay_alu instid0(SALU_CYCLE_1)
	s_or_b32 exec_lo, exec_lo, s7
	s_mov_b32 s1, 0
                                        ; implicit-def: $vgpr9
.LBB21_49:                              ;   in Loop: Header=BB21_3 Depth=1
	s_or_saveexec_b32 s0, s6
	v_mov_b32_e32 v27, s1
	s_xor_b32 exec_lo, exec_lo, s0
	s_cbranch_execz .LBB21_51
; %bb.50:                               ;   in Loop: Header=BB21_3 Depth=1
	flat_load_b64 v[21:22], v[25:26]
	v_add_co_u32 v25, vcc_lo, v25, 8
	v_add_nc_u32_e32 v27, -8, v9
	v_add_co_ci_u32_e32 v26, vcc_lo, 0, v26, vcc_lo
	s_waitcnt vmcnt(0) lgkmcnt(0)
	v_and_b32_e32 v23, 0xff, v22
	v_and_b32_e32 v24, 0xff00, v22
	;; [unrolled: 1-line block ×4, first 2 shown]
	v_or3_b32 v21, v21, 0, 0
	s_delay_alu instid0(VALU_DEP_4) | instskip(NEXT) | instid1(VALU_DEP_1)
	v_or_b32_e32 v23, v23, v24
	v_or3_b32 v22, v23, v28, v22
.LBB21_51:                              ;   in Loop: Header=BB21_3 Depth=1
	s_or_b32 exec_lo, exec_lo, s0
	s_delay_alu instid0(SALU_CYCLE_1)
	s_mov_b32 s0, exec_lo
	v_cmpx_gt_u32_e32 8, v27
	s_xor_b32 s4, exec_lo, s0
	s_cbranch_execz .LBB21_57
; %bb.52:                               ;   in Loop: Header=BB21_3 Depth=1
	v_mov_b32_e32 v23, 0
	v_mov_b32_e32 v24, 0
	s_mov_b32 s5, exec_lo
	v_cmpx_ne_u32_e32 0, v27
	s_cbranch_execz .LBB21_56
; %bb.53:                               ;   in Loop: Header=BB21_3 Depth=1
	v_mov_b32_e32 v23, 0
	v_mov_b32_e32 v24, 0
	s_mov_b64 s[0:1], 0
	s_mov_b32 s6, 0
	.p2align	6
.LBB21_54:                              ;   Parent Loop BB21_3 Depth=1
                                        ; =>  This Inner Loop Header: Depth=2
	flat_load_u8 v9, v[25:26]
	v_dual_mov_b32 v32, s11 :: v_dual_add_nc_u32 v27, -1, v27
	v_add_co_u32 v25, vcc_lo, v25, 1
	v_add_co_ci_u32_e32 v26, vcc_lo, 0, v26, vcc_lo
	s_delay_alu instid0(VALU_DEP_3) | instskip(SKIP_2) | instid1(VALU_DEP_1)
	v_cmp_eq_u32_e32 vcc_lo, 0, v27
	s_waitcnt vmcnt(0) lgkmcnt(0)
	v_and_b32_e32 v31, 0xffff, v9
	v_lshlrev_b64 v[31:32], s0, v[31:32]
	s_add_u32 s0, s0, 8
	s_addc_u32 s1, s1, 0
	s_or_b32 s6, vcc_lo, s6
	s_delay_alu instid0(VALU_DEP_1) | instskip(NEXT) | instid1(VALU_DEP_2)
	v_or_b32_e32 v24, v32, v24
	v_or_b32_e32 v23, v31, v23
	s_and_not1_b32 exec_lo, exec_lo, s6
	s_cbranch_execnz .LBB21_54
; %bb.55:                               ;   in Loop: Header=BB21_3 Depth=1
	s_or_b32 exec_lo, exec_lo, s6
.LBB21_56:                              ;   in Loop: Header=BB21_3 Depth=1
	s_delay_alu instid0(SALU_CYCLE_1)
	s_or_b32 exec_lo, exec_lo, s5
                                        ; implicit-def: $vgpr25_vgpr26
.LBB21_57:                              ;   in Loop: Header=BB21_3 Depth=1
	s_and_not1_saveexec_b32 s0, s4
	s_cbranch_execz .LBB21_59
; %bb.58:                               ;   in Loop: Header=BB21_3 Depth=1
	flat_load_b64 v[23:24], v[25:26]
	s_waitcnt vmcnt(0) lgkmcnt(0)
	v_and_b32_e32 v9, 0xff, v24
	v_and_b32_e32 v25, 0xff00, v24
	;; [unrolled: 1-line block ×4, first 2 shown]
	v_or3_b32 v23, v23, 0, 0
	s_delay_alu instid0(VALU_DEP_4) | instskip(NEXT) | instid1(VALU_DEP_1)
	v_or_b32_e32 v9, v9, v25
	v_or3_b32 v24, v9, v26, v24
.LBB21_59:                              ;   in Loop: Header=BB21_3 Depth=1
	s_or_b32 exec_lo, exec_lo, s0
	v_readfirstlane_b32 s0, v33
	v_mov_b32_e32 v31, 0
	v_mov_b32_e32 v32, 0
	s_delay_alu instid0(VALU_DEP_3) | instskip(NEXT) | instid1(VALU_DEP_1)
	v_cmp_eq_u32_e64 s0, s0, v33
	s_and_saveexec_b32 s1, s0
	s_cbranch_execz .LBB21_65
; %bb.60:                               ;   in Loop: Header=BB21_3 Depth=1
	s_waitcnt lgkmcnt(0)
	global_load_b64 v[27:28], v10, s[2:3] offset:24 glc
	s_waitcnt vmcnt(0)
	buffer_gl1_inv
	buffer_gl0_inv
	s_clause 0x1
	global_load_b64 v[25:26], v10, s[2:3] offset:40
	global_load_b64 v[31:32], v10, s[2:3]
	s_mov_b32 s4, exec_lo
	s_waitcnt vmcnt(1)
	v_and_b32_e32 v9, v26, v28
	v_and_b32_e32 v25, v25, v27
	s_delay_alu instid0(VALU_DEP_2) | instskip(NEXT) | instid1(VALU_DEP_2)
	v_mul_lo_u32 v9, v9, 24
	v_mul_hi_u32 v26, v25, 24
	v_mul_lo_u32 v25, v25, 24
	s_delay_alu instid0(VALU_DEP_2) | instskip(SKIP_1) | instid1(VALU_DEP_2)
	v_add_nc_u32_e32 v9, v26, v9
	s_waitcnt vmcnt(0)
	v_add_co_u32 v25, vcc_lo, v31, v25
	s_delay_alu instid0(VALU_DEP_2)
	v_add_co_ci_u32_e32 v26, vcc_lo, v32, v9, vcc_lo
	global_load_b64 v[25:26], v[25:26], off glc
	s_waitcnt vmcnt(0)
	global_atomic_cmpswap_b64 v[31:32], v10, v[25:28], s[2:3] offset:24 glc
	s_waitcnt vmcnt(0)
	buffer_gl1_inv
	buffer_gl0_inv
	v_cmpx_ne_u64_e64 v[31:32], v[27:28]
	s_cbranch_execz .LBB21_64
; %bb.61:                               ;   in Loop: Header=BB21_3 Depth=1
	s_mov_b32 s5, 0
	.p2align	6
.LBB21_62:                              ;   Parent Loop BB21_3 Depth=1
                                        ; =>  This Inner Loop Header: Depth=2
	s_sleep 1
	s_clause 0x1
	global_load_b64 v[25:26], v10, s[2:3] offset:40
	global_load_b64 v[34:35], v10, s[2:3]
	v_dual_mov_b32 v27, v31 :: v_dual_mov_b32 v28, v32
	s_waitcnt vmcnt(1)
	s_delay_alu instid0(VALU_DEP_1) | instskip(SKIP_1) | instid1(VALU_DEP_1)
	v_and_b32_e32 v9, v25, v27
	s_waitcnt vmcnt(0)
	v_mad_u64_u32 v[31:32], null, v9, 24, v[34:35]
	s_delay_alu instid0(VALU_DEP_1) | instskip(NEXT) | instid1(VALU_DEP_1)
	v_dual_mov_b32 v9, v32 :: v_dual_and_b32 v34, v26, v28
	v_mad_u64_u32 v[25:26], null, v34, 24, v[9:10]
	s_delay_alu instid0(VALU_DEP_1)
	v_mov_b32_e32 v32, v25
	global_load_b64 v[25:26], v[31:32], off glc
	s_waitcnt vmcnt(0)
	global_atomic_cmpswap_b64 v[31:32], v10, v[25:28], s[2:3] offset:24 glc
	s_waitcnt vmcnt(0)
	buffer_gl1_inv
	buffer_gl0_inv
	v_cmp_eq_u64_e32 vcc_lo, v[31:32], v[27:28]
	s_or_b32 s5, vcc_lo, s5
	s_delay_alu instid0(SALU_CYCLE_1)
	s_and_not1_b32 exec_lo, exec_lo, s5
	s_cbranch_execnz .LBB21_62
; %bb.63:                               ;   in Loop: Header=BB21_3 Depth=1
	s_or_b32 exec_lo, exec_lo, s5
.LBB21_64:                              ;   in Loop: Header=BB21_3 Depth=1
	s_delay_alu instid0(SALU_CYCLE_1)
	s_or_b32 exec_lo, exec_lo, s4
.LBB21_65:                              ;   in Loop: Header=BB21_3 Depth=1
	s_delay_alu instid0(SALU_CYCLE_1)
	s_or_b32 exec_lo, exec_lo, s1
	s_waitcnt lgkmcnt(0)
	s_clause 0x1
	global_load_b64 v[34:35], v10, s[2:3] offset:40
	global_load_b128 v[25:28], v10, s[2:3]
	v_readfirstlane_b32 s4, v31
	v_readfirstlane_b32 s5, v32
	s_mov_b32 s1, exec_lo
	s_waitcnt vmcnt(1)
	v_readfirstlane_b32 s6, v34
	v_readfirstlane_b32 s7, v35
	s_delay_alu instid0(VALU_DEP_1) | instskip(NEXT) | instid1(SALU_CYCLE_1)
	s_and_b64 s[6:7], s[4:5], s[6:7]
	s_mul_i32 s13, s7, 24
	s_mul_hi_u32 s14, s6, 24
	s_mul_i32 s15, s6, 24
	s_add_i32 s14, s14, s13
	s_waitcnt vmcnt(0)
	v_add_co_u32 v31, vcc_lo, v25, s15
	v_add_co_ci_u32_e32 v32, vcc_lo, s14, v26, vcc_lo
	s_and_saveexec_b32 s13, s0
	s_cbranch_execz .LBB21_67
; %bb.66:                               ;   in Loop: Header=BB21_3 Depth=1
	v_mov_b32_e32 v9, s1
	global_store_b128 v[31:32], v[9:12], off offset:8
.LBB21_67:                              ;   in Loop: Header=BB21_3 Depth=1
	s_or_b32 exec_lo, exec_lo, s13
	v_cmp_lt_u64_e32 vcc_lo, 56, v[4:5]
	v_or_b32_e32 v9, 0, v1
	v_or_b32_e32 v34, v0, v6
	v_lshl_add_u32 v35, v29, 2, 28
	s_lshl_b64 s[6:7], s[6:7], 12
	s_delay_alu instid0(SALU_CYCLE_1) | instskip(NEXT) | instid1(VALU_DEP_1)
	v_add_co_u32 v27, s1, v27, s6
	v_add_co_ci_u32_e64 v28, s1, s7, v28, s1
	v_dual_cndmask_b32 v1, v9, v1 :: v_dual_cndmask_b32 v0, v34, v0
	v_and_b32_e32 v9, 0x1e0, v35
	v_lshlrev_b32_e32 v34, 6, v33
	v_readfirstlane_b32 s6, v27
	v_readfirstlane_b32 s7, v28
	s_delay_alu instid0(VALU_DEP_4)
	v_and_or_b32 v0, 0xffffff1f, v0, v9
	s_clause 0x3
	global_store_b128 v34, v[0:3], s[6:7]
	global_store_b128 v34, v[13:16], s[6:7] offset:16
	global_store_b128 v34, v[17:20], s[6:7] offset:32
	;; [unrolled: 1-line block ×3, first 2 shown]
	s_and_saveexec_b32 s1, s0
	s_cbranch_execz .LBB21_75
; %bb.68:                               ;   in Loop: Header=BB21_3 Depth=1
	s_clause 0x1
	global_load_b64 v[17:18], v10, s[2:3] offset:32 glc
	global_load_b64 v[0:1], v10, s[2:3] offset:40
	v_dual_mov_b32 v15, s4 :: v_dual_mov_b32 v16, s5
	s_waitcnt vmcnt(0)
	v_readfirstlane_b32 s6, v0
	v_readfirstlane_b32 s7, v1
	s_delay_alu instid0(VALU_DEP_1) | instskip(NEXT) | instid1(SALU_CYCLE_1)
	s_and_b64 s[6:7], s[6:7], s[4:5]
	s_mul_i32 s7, s7, 24
	s_mul_hi_u32 s13, s6, 24
	s_mul_i32 s6, s6, 24
	s_add_i32 s13, s13, s7
	v_add_co_u32 v13, vcc_lo, v25, s6
	v_add_co_ci_u32_e32 v14, vcc_lo, s13, v26, vcc_lo
	s_mov_b32 s6, exec_lo
	global_store_b64 v[13:14], v[17:18], off
	s_waitcnt_vscnt null, 0x0
	global_atomic_cmpswap_b64 v[2:3], v10, v[15:18], s[2:3] offset:32 glc
	s_waitcnt vmcnt(0)
	v_cmpx_ne_u64_e64 v[2:3], v[17:18]
	s_cbranch_execz .LBB21_71
; %bb.69:                               ;   in Loop: Header=BB21_3 Depth=1
	s_mov_b32 s7, 0
.LBB21_70:                              ;   Parent Loop BB21_3 Depth=1
                                        ; =>  This Inner Loop Header: Depth=2
	v_dual_mov_b32 v0, s4 :: v_dual_mov_b32 v1, s5
	s_sleep 1
	global_store_b64 v[13:14], v[2:3], off
	s_waitcnt_vscnt null, 0x0
	global_atomic_cmpswap_b64 v[0:1], v10, v[0:3], s[2:3] offset:32 glc
	s_waitcnt vmcnt(0)
	v_cmp_eq_u64_e32 vcc_lo, v[0:1], v[2:3]
	v_dual_mov_b32 v3, v1 :: v_dual_mov_b32 v2, v0
	s_or_b32 s7, vcc_lo, s7
	s_delay_alu instid0(SALU_CYCLE_1)
	s_and_not1_b32 exec_lo, exec_lo, s7
	s_cbranch_execnz .LBB21_70
.LBB21_71:                              ;   in Loop: Header=BB21_3 Depth=1
	s_or_b32 exec_lo, exec_lo, s6
	global_load_b64 v[0:1], v10, s[2:3] offset:16
	s_mov_b32 s7, exec_lo
	s_mov_b32 s6, exec_lo
	v_mbcnt_lo_u32_b32 v2, s7, 0
	s_delay_alu instid0(VALU_DEP_1)
	v_cmpx_eq_u32_e32 0, v2
	s_cbranch_execz .LBB21_73
; %bb.72:                               ;   in Loop: Header=BB21_3 Depth=1
	s_bcnt1_i32_b32 s7, s7
	s_delay_alu instid0(SALU_CYCLE_1)
	v_mov_b32_e32 v9, s7
	s_waitcnt vmcnt(0)
	global_atomic_add_u64 v[0:1], v[9:10], off offset:8
.LBB21_73:                              ;   in Loop: Header=BB21_3 Depth=1
	s_or_b32 exec_lo, exec_lo, s6
	s_waitcnt vmcnt(0)
	global_load_b64 v[2:3], v[0:1], off offset:16
	s_waitcnt vmcnt(0)
	v_cmp_eq_u64_e32 vcc_lo, 0, v[2:3]
	s_cbranch_vccnz .LBB21_75
; %bb.74:                               ;   in Loop: Header=BB21_3 Depth=1
	global_load_b32 v9, v[0:1], off offset:24
	s_waitcnt vmcnt(0)
	v_and_b32_e32 v0, 0xffffff, v9
	s_waitcnt_vscnt null, 0x0
	global_store_b64 v[2:3], v[9:10], off
	v_readfirstlane_b32 m0, v0
	s_sendmsg sendmsg(MSG_INTERRUPT)
.LBB21_75:                              ;   in Loop: Header=BB21_3 Depth=1
	s_or_b32 exec_lo, exec_lo, s1
	v_add_co_u32 v0, vcc_lo, v27, v34
	v_add_co_ci_u32_e32 v1, vcc_lo, 0, v28, vcc_lo
	s_branch .LBB21_79
	.p2align	6
.LBB21_76:                              ;   in Loop: Header=BB21_79 Depth=2
	s_or_b32 exec_lo, exec_lo, s1
	s_delay_alu instid0(VALU_DEP_1) | instskip(NEXT) | instid1(VALU_DEP_1)
	v_readfirstlane_b32 s1, v2
	s_cmp_eq_u32 s1, 0
	s_cbranch_scc1 .LBB21_78
; %bb.77:                               ;   in Loop: Header=BB21_79 Depth=2
	s_sleep 1
	s_cbranch_execnz .LBB21_79
	s_branch .LBB21_81
	.p2align	6
.LBB21_78:                              ;   in Loop: Header=BB21_3 Depth=1
	s_branch .LBB21_81
.LBB21_79:                              ;   Parent Loop BB21_3 Depth=1
                                        ; =>  This Inner Loop Header: Depth=2
	v_mov_b32_e32 v2, 1
	s_and_saveexec_b32 s1, s0
	s_cbranch_execz .LBB21_76
; %bb.80:                               ;   in Loop: Header=BB21_79 Depth=2
	global_load_b32 v2, v[31:32], off offset:20 glc
	s_waitcnt vmcnt(0)
	buffer_gl1_inv
	buffer_gl0_inv
	v_and_b32_e32 v2, 1, v2
	s_branch .LBB21_76
.LBB21_81:                              ;   in Loop: Header=BB21_3 Depth=1
	global_load_b128 v[0:3], v[0:1], off
	s_and_saveexec_b32 s1, s0
	s_cbranch_execz .LBB21_2
; %bb.82:                               ;   in Loop: Header=BB21_3 Depth=1
	s_clause 0x2
	global_load_b64 v[2:3], v10, s[2:3] offset:40
	global_load_b64 v[17:18], v10, s[2:3] offset:24 glc
	global_load_b64 v[15:16], v10, s[2:3]
	s_waitcnt vmcnt(2)
	v_add_co_u32 v9, vcc_lo, v2, 1
	v_add_co_ci_u32_e32 v19, vcc_lo, 0, v3, vcc_lo
	s_delay_alu instid0(VALU_DEP_2) | instskip(NEXT) | instid1(VALU_DEP_2)
	v_add_co_u32 v13, vcc_lo, v9, s4
	v_add_co_ci_u32_e32 v14, vcc_lo, s5, v19, vcc_lo
	s_delay_alu instid0(VALU_DEP_1) | instskip(SKIP_1) | instid1(VALU_DEP_1)
	v_cmp_eq_u64_e32 vcc_lo, 0, v[13:14]
	v_dual_cndmask_b32 v14, v14, v19 :: v_dual_cndmask_b32 v13, v13, v9
	v_and_b32_e32 v3, v14, v3
	s_delay_alu instid0(VALU_DEP_2) | instskip(NEXT) | instid1(VALU_DEP_2)
	v_and_b32_e32 v2, v13, v2
	v_mul_lo_u32 v3, v3, 24
	s_delay_alu instid0(VALU_DEP_2) | instskip(SKIP_1) | instid1(VALU_DEP_2)
	v_mul_hi_u32 v9, v2, 24
	v_mul_lo_u32 v2, v2, 24
	v_add_nc_u32_e32 v3, v9, v3
	s_waitcnt vmcnt(0)
	s_delay_alu instid0(VALU_DEP_2) | instskip(SKIP_1) | instid1(VALU_DEP_3)
	v_add_co_u32 v2, vcc_lo, v15, v2
	v_mov_b32_e32 v15, v17
	v_add_co_ci_u32_e32 v3, vcc_lo, v16, v3, vcc_lo
	v_mov_b32_e32 v16, v18
	global_store_b64 v[2:3], v[17:18], off
	s_waitcnt_vscnt null, 0x0
	global_atomic_cmpswap_b64 v[15:16], v10, v[13:16], s[2:3] offset:24 glc
	s_waitcnt vmcnt(0)
	v_cmp_ne_u64_e32 vcc_lo, v[15:16], v[17:18]
	s_and_b32 exec_lo, exec_lo, vcc_lo
	s_cbranch_execz .LBB21_2
; %bb.83:                               ;   in Loop: Header=BB21_3 Depth=1
	s_mov_b32 s0, 0
.LBB21_84:                              ;   Parent Loop BB21_3 Depth=1
                                        ; =>  This Inner Loop Header: Depth=2
	s_sleep 1
	global_store_b64 v[2:3], v[15:16], off
	s_waitcnt_vscnt null, 0x0
	global_atomic_cmpswap_b64 v[17:18], v10, v[13:16], s[2:3] offset:24 glc
	s_waitcnt vmcnt(0)
	v_cmp_eq_u64_e32 vcc_lo, v[17:18], v[15:16]
	v_dual_mov_b32 v15, v17 :: v_dual_mov_b32 v16, v18
	s_or_b32 s0, vcc_lo, s0
	s_delay_alu instid0(SALU_CYCLE_1)
	s_and_not1_b32 exec_lo, exec_lo, s0
	s_cbranch_execnz .LBB21_84
	s_branch .LBB21_2
.LBB21_85:
	s_or_b32 exec_lo, exec_lo, s12
                                        ; implicit-def: $vgpr0
                                        ; implicit-def: $vgpr33
                                        ; implicit-def: $vgpr1
.LBB21_86:
	s_and_not1_saveexec_b32 s1, s10
	s_cbranch_execz .LBB21_108
; %bb.87:
	s_load_b64 s[2:3], s[8:9], 0x50
	v_readfirstlane_b32 s0, v33
	v_mov_b32_e32 v8, 0
	v_mov_b32_e32 v9, 0
	s_delay_alu instid0(VALU_DEP_3) | instskip(NEXT) | instid1(VALU_DEP_1)
	v_cmp_eq_u32_e64 s0, s0, v33
	s_and_saveexec_b32 s4, s0
	s_cbranch_execz .LBB21_93
; %bb.88:
	s_waitcnt vmcnt(0)
	v_mov_b32_e32 v2, 0
	s_mov_b32 s5, exec_lo
	s_waitcnt lgkmcnt(0)
	global_load_b64 v[5:6], v2, s[2:3] offset:24 glc
	s_waitcnt vmcnt(0)
	buffer_gl1_inv
	buffer_gl0_inv
	s_clause 0x1
	global_load_b64 v[3:4], v2, s[2:3] offset:40
	global_load_b64 v[7:8], v2, s[2:3]
	s_waitcnt vmcnt(1)
	v_and_b32_e32 v3, v3, v5
	v_and_b32_e32 v4, v4, v6
	s_delay_alu instid0(VALU_DEP_2) | instskip(NEXT) | instid1(VALU_DEP_2)
	v_mul_hi_u32 v9, v3, 24
	v_mul_lo_u32 v4, v4, 24
	v_mul_lo_u32 v3, v3, 24
	s_delay_alu instid0(VALU_DEP_2) | instskip(SKIP_1) | instid1(VALU_DEP_2)
	v_add_nc_u32_e32 v4, v9, v4
	s_waitcnt vmcnt(0)
	v_add_co_u32 v3, vcc_lo, v7, v3
	s_delay_alu instid0(VALU_DEP_2)
	v_add_co_ci_u32_e32 v4, vcc_lo, v8, v4, vcc_lo
	global_load_b64 v[3:4], v[3:4], off glc
	s_waitcnt vmcnt(0)
	global_atomic_cmpswap_b64 v[8:9], v2, v[3:6], s[2:3] offset:24 glc
	s_waitcnt vmcnt(0)
	buffer_gl1_inv
	buffer_gl0_inv
	v_cmpx_ne_u64_e64 v[8:9], v[5:6]
	s_cbranch_execz .LBB21_92
; %bb.89:
	s_mov_b32 s6, 0
	.p2align	6
.LBB21_90:                              ; =>This Inner Loop Header: Depth=1
	s_sleep 1
	s_clause 0x1
	global_load_b64 v[3:4], v2, s[2:3] offset:40
	global_load_b64 v[10:11], v2, s[2:3]
	v_dual_mov_b32 v5, v8 :: v_dual_mov_b32 v6, v9
	s_waitcnt vmcnt(1)
	s_delay_alu instid0(VALU_DEP_1) | instskip(NEXT) | instid1(VALU_DEP_2)
	v_and_b32_e32 v3, v3, v5
	v_and_b32_e32 v4, v4, v6
	s_waitcnt vmcnt(0)
	s_delay_alu instid0(VALU_DEP_2) | instskip(NEXT) | instid1(VALU_DEP_1)
	v_mad_u64_u32 v[7:8], null, v3, 24, v[10:11]
	v_mov_b32_e32 v3, v8
	s_delay_alu instid0(VALU_DEP_1)
	v_mad_u64_u32 v[8:9], null, v4, 24, v[3:4]
	global_load_b64 v[3:4], v[7:8], off glc
	s_waitcnt vmcnt(0)
	global_atomic_cmpswap_b64 v[8:9], v2, v[3:6], s[2:3] offset:24 glc
	s_waitcnt vmcnt(0)
	buffer_gl1_inv
	buffer_gl0_inv
	v_cmp_eq_u64_e32 vcc_lo, v[8:9], v[5:6]
	s_or_b32 s6, vcc_lo, s6
	s_delay_alu instid0(SALU_CYCLE_1)
	s_and_not1_b32 exec_lo, exec_lo, s6
	s_cbranch_execnz .LBB21_90
; %bb.91:
	s_or_b32 exec_lo, exec_lo, s6
.LBB21_92:
	s_delay_alu instid0(SALU_CYCLE_1)
	s_or_b32 exec_lo, exec_lo, s5
.LBB21_93:
	s_delay_alu instid0(SALU_CYCLE_1)
	s_or_b32 exec_lo, exec_lo, s4
	s_waitcnt vmcnt(0)
	v_mov_b32_e32 v2, 0
	v_readfirstlane_b32 s4, v8
	v_readfirstlane_b32 s5, v9
	s_mov_b32 s8, exec_lo
	s_waitcnt lgkmcnt(0)
	s_clause 0x1
	global_load_b64 v[10:11], v2, s[2:3] offset:40
	global_load_b128 v[4:7], v2, s[2:3]
	s_waitcnt vmcnt(1)
	v_readfirstlane_b32 s6, v10
	v_readfirstlane_b32 s7, v11
	s_delay_alu instid0(VALU_DEP_1) | instskip(NEXT) | instid1(SALU_CYCLE_1)
	s_and_b64 s[6:7], s[4:5], s[6:7]
	s_mul_i32 s9, s7, 24
	s_mul_hi_u32 s10, s6, 24
	s_mul_i32 s11, s6, 24
	s_add_i32 s10, s10, s9
	s_waitcnt vmcnt(0)
	v_add_co_u32 v8, vcc_lo, v4, s11
	v_add_co_ci_u32_e32 v9, vcc_lo, s10, v5, vcc_lo
	s_and_saveexec_b32 s9, s0
	s_cbranch_execz .LBB21_95
; %bb.94:
	v_dual_mov_b32 v10, s8 :: v_dual_mov_b32 v11, v2
	v_dual_mov_b32 v12, 2 :: v_dual_mov_b32 v13, 1
	global_store_b128 v[8:9], v[10:13], off offset:8
.LBB21_95:
	s_or_b32 exec_lo, exec_lo, s9
	s_lshl_b64 s[6:7], s[6:7], 12
	s_mov_b32 s8, 0
	v_add_co_u32 v6, vcc_lo, v6, s6
	v_add_co_ci_u32_e32 v7, vcc_lo, s7, v7, vcc_lo
	s_mov_b32 s11, s8
	s_mov_b32 s9, s8
	;; [unrolled: 1-line block ×3, first 2 shown]
	v_and_or_b32 v0, 0xffffff1f, v0, 32
	v_dual_mov_b32 v3, v2 :: v_dual_lshlrev_b32 v14, 6, v33
	v_readfirstlane_b32 s6, v6
	v_readfirstlane_b32 s7, v7
	v_dual_mov_b32 v13, s11 :: v_dual_mov_b32 v12, s10
	v_dual_mov_b32 v11, s9 :: v_dual_mov_b32 v10, s8
	s_clause 0x3
	global_store_b128 v14, v[0:3], s[6:7]
	global_store_b128 v14, v[10:13], s[6:7] offset:16
	global_store_b128 v14, v[10:13], s[6:7] offset:32
	;; [unrolled: 1-line block ×3, first 2 shown]
	s_and_saveexec_b32 s6, s0
	s_cbranch_execz .LBB21_102
; %bb.96:
	v_mov_b32_e32 v6, 0
	s_mov_b32 s7, exec_lo
	s_clause 0x1
	global_load_b64 v[12:13], v6, s[2:3] offset:32 glc
	global_load_b64 v[0:1], v6, s[2:3] offset:40
	v_dual_mov_b32 v11, s5 :: v_dual_mov_b32 v10, s4
	s_waitcnt vmcnt(0)
	v_and_b32_e32 v1, s5, v1
	v_and_b32_e32 v0, s4, v0
	s_delay_alu instid0(VALU_DEP_2) | instskip(NEXT) | instid1(VALU_DEP_2)
	v_mul_lo_u32 v1, v1, 24
	v_mul_hi_u32 v2, v0, 24
	v_mul_lo_u32 v0, v0, 24
	s_delay_alu instid0(VALU_DEP_2) | instskip(NEXT) | instid1(VALU_DEP_2)
	v_add_nc_u32_e32 v1, v2, v1
	v_add_co_u32 v4, vcc_lo, v4, v0
	s_delay_alu instid0(VALU_DEP_2)
	v_add_co_ci_u32_e32 v5, vcc_lo, v5, v1, vcc_lo
	global_store_b64 v[4:5], v[12:13], off
	s_waitcnt_vscnt null, 0x0
	global_atomic_cmpswap_b64 v[2:3], v6, v[10:13], s[2:3] offset:32 glc
	s_waitcnt vmcnt(0)
	v_cmpx_ne_u64_e64 v[2:3], v[12:13]
	s_cbranch_execz .LBB21_98
.LBB21_97:                              ; =>This Inner Loop Header: Depth=1
	v_dual_mov_b32 v0, s4 :: v_dual_mov_b32 v1, s5
	s_sleep 1
	global_store_b64 v[4:5], v[2:3], off
	s_waitcnt_vscnt null, 0x0
	global_atomic_cmpswap_b64 v[0:1], v6, v[0:3], s[2:3] offset:32 glc
	s_waitcnt vmcnt(0)
	v_cmp_eq_u64_e32 vcc_lo, v[0:1], v[2:3]
	v_dual_mov_b32 v3, v1 :: v_dual_mov_b32 v2, v0
	s_or_b32 s8, vcc_lo, s8
	s_delay_alu instid0(SALU_CYCLE_1)
	s_and_not1_b32 exec_lo, exec_lo, s8
	s_cbranch_execnz .LBB21_97
.LBB21_98:
	s_or_b32 exec_lo, exec_lo, s7
	v_mov_b32_e32 v3, 0
	s_mov_b32 s8, exec_lo
	s_mov_b32 s7, exec_lo
	v_mbcnt_lo_u32_b32 v2, s8, 0
	global_load_b64 v[0:1], v3, s[2:3] offset:16
	v_cmpx_eq_u32_e32 0, v2
	s_cbranch_execz .LBB21_100
; %bb.99:
	s_bcnt1_i32_b32 s8, s8
	s_delay_alu instid0(SALU_CYCLE_1)
	v_mov_b32_e32 v2, s8
	s_waitcnt vmcnt(0)
	global_atomic_add_u64 v[0:1], v[2:3], off offset:8
.LBB21_100:
	s_or_b32 exec_lo, exec_lo, s7
	s_waitcnt vmcnt(0)
	global_load_b64 v[2:3], v[0:1], off offset:16
	s_waitcnt vmcnt(0)
	v_cmp_eq_u64_e32 vcc_lo, 0, v[2:3]
	s_cbranch_vccnz .LBB21_102
; %bb.101:
	global_load_b32 v0, v[0:1], off offset:24
	s_waitcnt vmcnt(0)
	v_dual_mov_b32 v1, 0 :: v_dual_and_b32 v4, 0xffffff, v0
	s_waitcnt_vscnt null, 0x0
	global_store_b64 v[2:3], v[0:1], off
	v_readfirstlane_b32 m0, v4
	s_sendmsg sendmsg(MSG_INTERRUPT)
.LBB21_102:
	s_or_b32 exec_lo, exec_lo, s6
	s_branch .LBB21_106
	.p2align	6
.LBB21_103:                             ;   in Loop: Header=BB21_106 Depth=1
	s_or_b32 exec_lo, exec_lo, s6
	s_delay_alu instid0(VALU_DEP_1) | instskip(NEXT) | instid1(VALU_DEP_1)
	v_readfirstlane_b32 s6, v0
	s_cmp_eq_u32 s6, 0
	s_cbranch_scc1 .LBB21_105
; %bb.104:                              ;   in Loop: Header=BB21_106 Depth=1
	s_sleep 1
	s_cbranch_execnz .LBB21_106
	s_branch .LBB21_109
	.p2align	6
.LBB21_105:
	s_branch .LBB21_109
.LBB21_106:                             ; =>This Inner Loop Header: Depth=1
	v_mov_b32_e32 v0, 1
	s_and_saveexec_b32 s6, s0
	s_cbranch_execz .LBB21_103
; %bb.107:                              ;   in Loop: Header=BB21_106 Depth=1
	global_load_b32 v0, v[8:9], off offset:20 glc
	s_waitcnt vmcnt(0)
	buffer_gl1_inv
	buffer_gl0_inv
	v_and_b32_e32 v0, 1, v0
	s_branch .LBB21_103
.LBB21_108:
	s_or_b32 exec_lo, exec_lo, s1
	s_waitcnt vmcnt(0) lgkmcnt(0)
	s_setpc_b64 s[30:31]
.LBB21_109:
	s_and_saveexec_b32 s6, s0
	s_cbranch_execz .LBB21_113
; %bb.110:
	v_mov_b32_e32 v6, 0
	s_clause 0x2
	global_load_b64 v[2:3], v6, s[2:3] offset:40
	global_load_b64 v[7:8], v6, s[2:3] offset:24 glc
	global_load_b64 v[4:5], v6, s[2:3]
	s_waitcnt vmcnt(2)
	v_add_co_u32 v9, vcc_lo, v2, 1
	v_add_co_ci_u32_e32 v10, vcc_lo, 0, v3, vcc_lo
	s_delay_alu instid0(VALU_DEP_2) | instskip(NEXT) | instid1(VALU_DEP_2)
	v_add_co_u32 v0, vcc_lo, v9, s4
	v_add_co_ci_u32_e32 v1, vcc_lo, s5, v10, vcc_lo
	s_delay_alu instid0(VALU_DEP_1) | instskip(SKIP_1) | instid1(VALU_DEP_1)
	v_cmp_eq_u64_e32 vcc_lo, 0, v[0:1]
	v_dual_cndmask_b32 v1, v1, v10 :: v_dual_cndmask_b32 v0, v0, v9
	v_and_b32_e32 v3, v1, v3
	s_delay_alu instid0(VALU_DEP_2) | instskip(NEXT) | instid1(VALU_DEP_2)
	v_and_b32_e32 v2, v0, v2
	v_mul_lo_u32 v3, v3, 24
	s_delay_alu instid0(VALU_DEP_2) | instskip(SKIP_1) | instid1(VALU_DEP_2)
	v_mul_hi_u32 v9, v2, 24
	v_mul_lo_u32 v2, v2, 24
	v_add_nc_u32_e32 v3, v9, v3
	s_waitcnt vmcnt(0)
	s_delay_alu instid0(VALU_DEP_2) | instskip(SKIP_1) | instid1(VALU_DEP_3)
	v_add_co_u32 v4, vcc_lo, v4, v2
	v_mov_b32_e32 v2, v7
	v_add_co_ci_u32_e32 v5, vcc_lo, v5, v3, vcc_lo
	v_mov_b32_e32 v3, v8
	global_store_b64 v[4:5], v[7:8], off
	s_waitcnt_vscnt null, 0x0
	global_atomic_cmpswap_b64 v[2:3], v6, v[0:3], s[2:3] offset:24 glc
	s_waitcnt vmcnt(0)
	v_cmp_ne_u64_e32 vcc_lo, v[2:3], v[7:8]
	s_and_b32 exec_lo, exec_lo, vcc_lo
	s_cbranch_execz .LBB21_113
; %bb.111:
	s_mov_b32 s0, 0
.LBB21_112:                             ; =>This Inner Loop Header: Depth=1
	s_sleep 1
	global_store_b64 v[4:5], v[2:3], off
	s_waitcnt_vscnt null, 0x0
	global_atomic_cmpswap_b64 v[7:8], v6, v[0:3], s[2:3] offset:24 glc
	s_waitcnt vmcnt(0)
	v_cmp_eq_u64_e32 vcc_lo, v[7:8], v[2:3]
	v_dual_mov_b32 v2, v7 :: v_dual_mov_b32 v3, v8
	s_or_b32 s0, vcc_lo, s0
	s_delay_alu instid0(SALU_CYCLE_1)
	s_and_not1_b32 exec_lo, exec_lo, s0
	s_cbranch_execnz .LBB21_112
.LBB21_113:
	s_or_b32 exec_lo, exec_lo, s6
	s_delay_alu instid0(SALU_CYCLE_1)
	s_or_b32 exec_lo, exec_lo, s1
	s_waitcnt lgkmcnt(0)
	s_setpc_b64 s[30:31]
.Lfunc_end21:
	.size	__ockl_fprintf_append_string_n, .Lfunc_end21-__ockl_fprintf_append_string_n
                                        ; -- End function
	.section	.AMDGPU.csdata,"",@progbits
; Function info:
; codeLenInByte = 4740
; NumSgprs: 34
; NumVgprs: 36
; ScratchSize: 0
; MemoryBound: 0
	.text
	.p2align	2                               ; -- Begin function __assert_fail
	.type	__assert_fail,@function
__assert_fail:                          ; @__assert_fail
; %bb.0:
	s_waitcnt vmcnt(0) expcnt(0) lgkmcnt(0)
	s_mov_b32 s20, s33
	s_mov_b32 s33, s32
	s_or_saveexec_b32 s0, -1
	scratch_store_b32 off, v40, s33 offset:48 ; 4-byte Folded Spill
	s_mov_b32 exec_lo, s0
	v_writelane_b32 v40, s30, 0
	s_add_i32 s32, s32, 64
	v_writelane_b32 v40, s31, 1
	s_getpc_b64 s[0:1]
	s_add_u32 s0, s0, __const.__assert_fail.fmt@rel32@lo+4
	s_addc_u32 s1, s1, __const.__assert_fail.fmt@rel32@hi+12
	s_getpc_b64 s[2:3]
	s_add_u32 s2, s2, __const.__assert_fail.fmt@rel32@lo+20
	s_addc_u32 s3, s3, __const.__assert_fail.fmt@rel32@hi+28
	v_mbcnt_lo_u32_b32 v35, -1, 0
	s_clause 0x1
	s_load_b128 s[4:7], s[0:1], 0x0
	s_load_b128 s[12:15], s[2:3], 0x0
	s_load_b64 s[2:3], s[8:9], 0x50
	v_dual_mov_b32 v5, v1 :: v_dual_mov_b32 v4, v0
	v_mov_b32_e32 v14, 0x73256020
	v_readfirstlane_b32 s0, v35
	v_mov_b32_e32 v0, 0
	v_dual_mov_b32 v2, 0 :: v_dual_mov_b32 v3, 0xa2e
	v_mov_b32_e32 v15, 0x61662027
	v_dual_mov_b32 v16, 0x64656c69 :: v_dual_mov_b32 v1, 0
	v_cmp_eq_u32_e64 s0, s0, v35
	s_waitcnt lgkmcnt(0)
	v_dual_mov_b32 v9, s7 :: v_dual_mov_b32 v8, s6
	v_dual_mov_b32 v7, s5 :: v_dual_mov_b32 v6, s4
	;; [unrolled: 1-line block ×4, first 2 shown]
	s_clause 0x4
	scratch_store_b128 off, v[6:9], s33
	scratch_store_b128 off, v[10:13], s33 offset:16
	scratch_store_b8 off, v2, s33 offset:46
	scratch_store_b16 off, v3, s33 offset:44
	scratch_store_b96 off, v[14:16], s33 offset:32
	s_and_saveexec_b32 s1, s0
	s_cbranch_execz .LBB22_6
; %bb.1:
	global_load_b64 v[8:9], v2, s[2:3] offset:24 glc
	s_waitcnt vmcnt(0)
	buffer_gl1_inv
	buffer_gl0_inv
	s_clause 0x1
	global_load_b64 v[0:1], v2, s[2:3] offset:40
	global_load_b64 v[6:7], v2, s[2:3]
	s_mov_b32 s4, exec_lo
	s_waitcnt vmcnt(1)
	v_and_b32_e32 v1, v1, v9
	v_and_b32_e32 v0, v0, v8
	s_delay_alu instid0(VALU_DEP_2) | instskip(NEXT) | instid1(VALU_DEP_2)
	v_mul_lo_u32 v1, v1, 24
	v_mul_hi_u32 v3, v0, 24
	v_mul_lo_u32 v0, v0, 24
	s_delay_alu instid0(VALU_DEP_2) | instskip(SKIP_1) | instid1(VALU_DEP_2)
	v_add_nc_u32_e32 v1, v3, v1
	s_waitcnt vmcnt(0)
	v_add_co_u32 v0, vcc_lo, v6, v0
	s_delay_alu instid0(VALU_DEP_2)
	v_add_co_ci_u32_e32 v1, vcc_lo, v7, v1, vcc_lo
	global_load_b64 v[6:7], v[0:1], off glc
	s_waitcnt vmcnt(0)
	global_atomic_cmpswap_b64 v[0:1], v2, v[6:9], s[2:3] offset:24 glc
	s_waitcnt vmcnt(0)
	buffer_gl1_inv
	buffer_gl0_inv
	v_cmpx_ne_u64_e64 v[0:1], v[8:9]
	s_cbranch_execz .LBB22_5
; %bb.2:
	s_mov_b32 s5, 0
	.p2align	6
.LBB22_3:                               ; =>This Inner Loop Header: Depth=1
	s_sleep 1
	s_clause 0x1
	global_load_b64 v[6:7], v2, s[2:3] offset:40
	global_load_b64 v[10:11], v2, s[2:3]
	v_dual_mov_b32 v9, v1 :: v_dual_mov_b32 v8, v0
	s_waitcnt vmcnt(1)
	s_delay_alu instid0(VALU_DEP_1) | instskip(SKIP_1) | instid1(VALU_DEP_1)
	v_and_b32_e32 v3, v6, v8
	s_waitcnt vmcnt(0)
	v_mad_u64_u32 v[0:1], null, v3, 24, v[10:11]
	v_and_b32_e32 v3, v7, v9
	s_delay_alu instid0(VALU_DEP_1) | instskip(NEXT) | instid1(VALU_DEP_1)
	v_mad_u64_u32 v[6:7], null, v3, 24, v[1:2]
	v_mov_b32_e32 v1, v6
	global_load_b64 v[6:7], v[0:1], off glc
	s_waitcnt vmcnt(0)
	global_atomic_cmpswap_b64 v[0:1], v2, v[6:9], s[2:3] offset:24 glc
	s_waitcnt vmcnt(0)
	buffer_gl1_inv
	buffer_gl0_inv
	v_cmp_eq_u64_e32 vcc_lo, v[0:1], v[8:9]
	s_or_b32 s5, vcc_lo, s5
	s_delay_alu instid0(SALU_CYCLE_1)
	s_and_not1_b32 exec_lo, exec_lo, s5
	s_cbranch_execnz .LBB22_3
; %bb.4:
	s_or_b32 exec_lo, exec_lo, s5
.LBB22_5:
	s_delay_alu instid0(SALU_CYCLE_1)
	s_or_b32 exec_lo, exec_lo, s4
.LBB22_6:
	s_delay_alu instid0(SALU_CYCLE_1)
	s_or_b32 exec_lo, exec_lo, s1
	s_clause 0x1
	global_load_b64 v[10:11], v2, s[2:3] offset:40
	global_load_b128 v[6:9], v2, s[2:3]
	v_readfirstlane_b32 s4, v0
	v_readfirstlane_b32 s5, v1
	s_mov_b32 s1, exec_lo
	s_waitcnt vmcnt(1)
	v_readfirstlane_b32 s6, v10
	v_readfirstlane_b32 s7, v11
	s_delay_alu instid0(VALU_DEP_1) | instskip(NEXT) | instid1(SALU_CYCLE_1)
	s_and_b64 s[6:7], s[4:5], s[6:7]
	s_mul_i32 s10, s7, 24
	s_mul_hi_u32 s11, s6, 24
	s_mul_i32 s12, s6, 24
	s_add_i32 s11, s11, s10
	s_waitcnt vmcnt(0)
	v_add_co_u32 v10, vcc_lo, v6, s12
	v_add_co_ci_u32_e32 v11, vcc_lo, s11, v7, vcc_lo
	s_and_saveexec_b32 s10, s0
	s_cbranch_execz .LBB22_8
; %bb.7:
	v_dual_mov_b32 v0, s1 :: v_dual_mov_b32 v1, 0
	v_dual_mov_b32 v2, 2 :: v_dual_mov_b32 v3, 1
	global_store_b128 v[10:11], v[0:3], off offset:8
.LBB22_8:
	s_or_b32 exec_lo, exec_lo, s10
	s_lshl_b64 s[6:7], s[6:7], 12
	v_dual_mov_b32 v1, 0 :: v_dual_lshlrev_b32 v34, 6, v35
	v_add_co_u32 v8, vcc_lo, v8, s6
	v_add_co_ci_u32_e32 v9, vcc_lo, s7, v9, vcc_lo
	s_mov_b32 s12, 0
	s_delay_alu instid0(VALU_DEP_2)
	v_add_co_u32 v12, vcc_lo, v8, v34
	s_mov_b32 s15, s12
	s_mov_b32 s13, s12
	;; [unrolled: 1-line block ×3, first 2 shown]
	v_dual_mov_b32 v0, 33 :: v_dual_mov_b32 v3, v1
	v_dual_mov_b32 v2, 1 :: v_dual_mov_b32 v17, s15
	v_readfirstlane_b32 s6, v8
	v_readfirstlane_b32 s7, v9
	v_add_co_ci_u32_e32 v13, vcc_lo, 0, v9, vcc_lo
	v_dual_mov_b32 v16, s14 :: v_dual_mov_b32 v15, s13
	v_mov_b32_e32 v14, s12
	s_clause 0x3
	global_store_b128 v34, v[0:3], s[6:7]
	global_store_b128 v34, v[14:17], s[6:7] offset:16
	global_store_b128 v34, v[14:17], s[6:7] offset:32
	;; [unrolled: 1-line block ×3, first 2 shown]
	s_and_saveexec_b32 s1, s0
	s_cbranch_execz .LBB22_16
; %bb.9:
	s_clause 0x1
	global_load_b64 v[16:17], v1, s[2:3] offset:32 glc
	global_load_b64 v[2:3], v1, s[2:3] offset:40
	v_mov_b32_e32 v14, s4
	s_mov_b32 s6, exec_lo
	s_waitcnt vmcnt(0)
	v_dual_mov_b32 v15, s5 :: v_dual_and_b32 v0, s5, v3
	v_and_b32_e32 v2, s4, v2
	s_delay_alu instid0(VALU_DEP_2) | instskip(NEXT) | instid1(VALU_DEP_2)
	v_mul_lo_u32 v0, v0, 24
	v_mul_hi_u32 v3, v2, 24
	v_mul_lo_u32 v2, v2, 24
	s_delay_alu instid0(VALU_DEP_2) | instskip(NEXT) | instid1(VALU_DEP_2)
	v_add_nc_u32_e32 v0, v3, v0
	v_add_co_u32 v2, vcc_lo, v6, v2
	s_delay_alu instid0(VALU_DEP_2)
	v_add_co_ci_u32_e32 v3, vcc_lo, v7, v0, vcc_lo
	global_store_b64 v[2:3], v[16:17], off
	s_waitcnt_vscnt null, 0x0
	global_atomic_cmpswap_b64 v[8:9], v1, v[14:17], s[2:3] offset:32 glc
	s_waitcnt vmcnt(0)
	v_cmpx_ne_u64_e64 v[8:9], v[16:17]
	s_cbranch_execz .LBB22_12
; %bb.10:
	s_mov_b32 s7, 0
.LBB22_11:                              ; =>This Inner Loop Header: Depth=1
	v_dual_mov_b32 v6, s4 :: v_dual_mov_b32 v7, s5
	s_sleep 1
	global_store_b64 v[2:3], v[8:9], off
	s_waitcnt_vscnt null, 0x0
	global_atomic_cmpswap_b64 v[6:7], v1, v[6:9], s[2:3] offset:32 glc
	s_waitcnt vmcnt(0)
	v_cmp_eq_u64_e32 vcc_lo, v[6:7], v[8:9]
	v_dual_mov_b32 v9, v7 :: v_dual_mov_b32 v8, v6
	s_or_b32 s7, vcc_lo, s7
	s_delay_alu instid0(SALU_CYCLE_1)
	s_and_not1_b32 exec_lo, exec_lo, s7
	s_cbranch_execnz .LBB22_11
.LBB22_12:
	s_or_b32 exec_lo, exec_lo, s6
	v_mov_b32_e32 v3, 0
	s_mov_b32 s7, exec_lo
	s_mov_b32 s6, exec_lo
	v_mbcnt_lo_u32_b32 v2, s7, 0
	global_load_b64 v[0:1], v3, s[2:3] offset:16
	v_cmpx_eq_u32_e32 0, v2
	s_cbranch_execz .LBB22_14
; %bb.13:
	s_bcnt1_i32_b32 s7, s7
	s_delay_alu instid0(SALU_CYCLE_1)
	v_mov_b32_e32 v2, s7
	s_waitcnt vmcnt(0)
	global_atomic_add_u64 v[0:1], v[2:3], off offset:8
.LBB22_14:
	s_or_b32 exec_lo, exec_lo, s6
	s_waitcnt vmcnt(0)
	global_load_b64 v[2:3], v[0:1], off offset:16
	s_waitcnt vmcnt(0)
	v_cmp_eq_u64_e32 vcc_lo, 0, v[2:3]
	s_cbranch_vccnz .LBB22_16
; %bb.15:
	global_load_b32 v0, v[0:1], off offset:24
	s_waitcnt vmcnt(0)
	v_dual_mov_b32 v1, 0 :: v_dual_and_b32 v6, 0xffffff, v0
	s_waitcnt_vscnt null, 0x0
	global_store_b64 v[2:3], v[0:1], off
	v_readfirstlane_b32 m0, v6
	s_sendmsg sendmsg(MSG_INTERRUPT)
.LBB22_16:
	s_or_b32 exec_lo, exec_lo, s1
	s_branch .LBB22_20
	.p2align	6
.LBB22_17:                              ;   in Loop: Header=BB22_20 Depth=1
	s_or_b32 exec_lo, exec_lo, s1
	s_delay_alu instid0(VALU_DEP_1) | instskip(NEXT) | instid1(VALU_DEP_1)
	v_readfirstlane_b32 s1, v0
	s_cmp_eq_u32 s1, 0
	s_cbranch_scc1 .LBB22_19
; %bb.18:                               ;   in Loop: Header=BB22_20 Depth=1
	s_sleep 1
	s_cbranch_execnz .LBB22_20
	s_branch .LBB22_22
	.p2align	6
.LBB22_19:
	s_branch .LBB22_22
.LBB22_20:                              ; =>This Inner Loop Header: Depth=1
	v_mov_b32_e32 v0, 1
	s_and_saveexec_b32 s1, s0
	s_cbranch_execz .LBB22_17
; %bb.21:                               ;   in Loop: Header=BB22_20 Depth=1
	global_load_b32 v0, v[10:11], off offset:20 glc
	s_waitcnt vmcnt(0)
	buffer_gl1_inv
	buffer_gl0_inv
	v_and_b32_e32 v0, 1, v0
	s_branch .LBB22_17
.LBB22_22:
	global_load_b64 v[6:7], v[12:13], off
	s_and_saveexec_b32 s1, s0
	s_cbranch_execz .LBB22_26
; %bb.23:
	v_mov_b32_e32 v10, 0
	s_clause 0x2
	global_load_b64 v[2:3], v10, s[2:3] offset:40
	global_load_b64 v[11:12], v10, s[2:3] offset:24 glc
	global_load_b64 v[8:9], v10, s[2:3]
	s_waitcnt vmcnt(2)
	v_add_co_u32 v13, vcc_lo, v2, 1
	v_add_co_ci_u32_e32 v14, vcc_lo, 0, v3, vcc_lo
	s_delay_alu instid0(VALU_DEP_2) | instskip(NEXT) | instid1(VALU_DEP_2)
	v_add_co_u32 v0, vcc_lo, v13, s4
	v_add_co_ci_u32_e32 v1, vcc_lo, s5, v14, vcc_lo
	s_delay_alu instid0(VALU_DEP_1) | instskip(SKIP_1) | instid1(VALU_DEP_1)
	v_cmp_eq_u64_e32 vcc_lo, 0, v[0:1]
	v_dual_cndmask_b32 v1, v1, v14 :: v_dual_cndmask_b32 v0, v0, v13
	v_and_b32_e32 v3, v1, v3
	s_delay_alu instid0(VALU_DEP_2) | instskip(NEXT) | instid1(VALU_DEP_2)
	v_and_b32_e32 v2, v0, v2
	v_mul_lo_u32 v3, v3, 24
	s_delay_alu instid0(VALU_DEP_2) | instskip(SKIP_1) | instid1(VALU_DEP_2)
	v_mul_hi_u32 v13, v2, 24
	v_mul_lo_u32 v2, v2, 24
	v_add_nc_u32_e32 v3, v13, v3
	s_waitcnt vmcnt(0)
	s_delay_alu instid0(VALU_DEP_2) | instskip(SKIP_1) | instid1(VALU_DEP_3)
	v_add_co_u32 v8, vcc_lo, v8, v2
	v_mov_b32_e32 v2, v11
	v_add_co_ci_u32_e32 v9, vcc_lo, v9, v3, vcc_lo
	v_mov_b32_e32 v3, v12
	global_store_b64 v[8:9], v[11:12], off
	s_waitcnt_vscnt null, 0x0
	global_atomic_cmpswap_b64 v[2:3], v10, v[0:3], s[2:3] offset:24 glc
	s_waitcnt vmcnt(0)
	v_cmp_ne_u64_e32 vcc_lo, v[2:3], v[11:12]
	s_and_b32 exec_lo, exec_lo, vcc_lo
	s_cbranch_execz .LBB22_26
; %bb.24:
	s_mov_b32 s0, 0
.LBB22_25:                              ; =>This Inner Loop Header: Depth=1
	s_sleep 1
	global_store_b64 v[8:9], v[2:3], off
	s_waitcnt_vscnt null, 0x0
	global_atomic_cmpswap_b64 v[11:12], v10, v[0:3], s[2:3] offset:24 glc
	s_waitcnt vmcnt(0)
	v_cmp_eq_u64_e32 vcc_lo, v[11:12], v[2:3]
	v_dual_mov_b32 v2, v11 :: v_dual_mov_b32 v3, v12
	s_or_b32 s0, vcc_lo, s0
	s_delay_alu instid0(SALU_CYCLE_1)
	s_and_not1_b32 exec_lo, exec_lo, s0
	s_cbranch_execnz .LBB22_25
.LBB22_26:
	s_or_b32 exec_lo, exec_lo, s1
	v_mov_b32_e32 v1, s33
	s_mov_b32 s0, 0
.LBB22_27:                              ; =>This Inner Loop Header: Depth=1
	scratch_load_u8 v2, v1, off
	v_add_nc_u32_e32 v0, 1, v1
	s_delay_alu instid0(VALU_DEP_1) | instskip(SKIP_3) | instid1(SALU_CYCLE_1)
	v_mov_b32_e32 v1, v0
	s_waitcnt vmcnt(0)
	v_cmp_eq_u16_e32 vcc_lo, 0, v2
	s_or_b32 s0, vcc_lo, s0
	s_and_not1_b32 exec_lo, exec_lo, s0
	s_cbranch_execnz .LBB22_27
; %bb.28:
	s_or_b32 exec_lo, exec_lo, s0
	v_cmp_ne_u32_e64 s0, -1, s33
	s_delay_alu instid0(VALU_DEP_1)
	s_and_b32 vcc_lo, exec_lo, s0
	s_cbranch_vccz .LBB22_113
; %bb.29:
	v_subrev_nc_u32_e32 v28, s33, v0
	v_dual_mov_b32 v9, 0 :: v_dual_and_b32 v36, 2, v6
	v_dual_mov_b32 v1, v7 :: v_dual_and_b32 v0, -3, v6
	s_delay_alu instid0(VALU_DEP_3)
	v_ashrrev_i32_e32 v29, 31, v28
	v_dual_mov_b32 v37, s33 :: v_dual_mov_b32 v10, 2
	v_mov_b32_e32 v11, 1
	s_mov_b32 s11, 0
	s_mov_b32 s10, 0
	s_branch .LBB22_31
.LBB22_30:                              ;   in Loop: Header=BB22_31 Depth=1
	s_or_b32 exec_lo, exec_lo, s1
	v_sub_co_u32 v28, vcc_lo, v28, v30
	v_sub_co_ci_u32_e32 v29, vcc_lo, v29, v31, vcc_lo
	v_add_nc_u32_e32 v37, v37, v30
	s_delay_alu instid0(VALU_DEP_2) | instskip(SKIP_1) | instid1(SALU_CYCLE_1)
	v_cmp_eq_u64_e32 vcc_lo, 0, v[28:29]
	s_or_b32 s10, vcc_lo, s10
	s_and_not1_b32 exec_lo, exec_lo, s10
	s_cbranch_execz .LBB22_114
.LBB22_31:                              ; =>This Loop Header: Depth=1
                                        ;     Child Loop BB22_34 Depth 2
                                        ;     Child Loop BB22_42 Depth 2
	;; [unrolled: 1-line block ×11, first 2 shown]
	v_cmp_gt_u64_e32 vcc_lo, 56, v[28:29]
	s_mov_b32 s4, exec_lo
                                        ; implicit-def: $vgpr2_vgpr3
                                        ; implicit-def: $sgpr1
	v_dual_cndmask_b32 v31, 0, v29 :: v_dual_cndmask_b32 v30, 56, v28
	v_cmpx_gt_u64_e32 8, v[28:29]
	s_xor_b32 s4, exec_lo, s4
	s_cbranch_execz .LBB22_37
; %bb.32:                               ;   in Loop: Header=BB22_31 Depth=1
	s_waitcnt vmcnt(0)
	v_mov_b32_e32 v2, 0
	v_mov_b32_e32 v3, 0
	s_mov_b64 s[0:1], 0
	s_mov_b32 s5, exec_lo
	v_cmpx_ne_u64_e32 0, v[28:29]
	s_cbranch_execz .LBB22_36
; %bb.33:                               ;   in Loop: Header=BB22_31 Depth=1
	v_lshlrev_b64 v[12:13], 3, v[30:31]
	v_mov_b32_e32 v2, 0
	v_dual_mov_b32 v3, 0 :: v_dual_mov_b32 v8, v37
	s_mov_b32 s6, 0
.LBB22_34:                              ;   Parent Loop BB22_31 Depth=1
                                        ; =>  This Inner Loop Header: Depth=2
	scratch_load_u8 v13, v8, off
	v_mov_b32_e32 v14, s11
	v_add_nc_u32_e32 v8, 1, v8
	s_waitcnt vmcnt(0)
	v_and_b32_e32 v13, 0xffff, v13
	s_delay_alu instid0(VALU_DEP_1) | instskip(SKIP_3) | instid1(VALU_DEP_2)
	v_lshlrev_b64 v[13:14], s0, v[13:14]
	s_add_u32 s0, s0, 8
	s_addc_u32 s1, s1, 0
	v_cmp_eq_u32_e32 vcc_lo, s0, v12
	v_or_b32_e32 v3, v14, v3
	s_delay_alu instid0(VALU_DEP_3) | instskip(SKIP_1) | instid1(SALU_CYCLE_1)
	v_or_b32_e32 v2, v13, v2
	s_or_b32 s6, vcc_lo, s6
	s_and_not1_b32 exec_lo, exec_lo, s6
	s_cbranch_execnz .LBB22_34
; %bb.35:                               ;   in Loop: Header=BB22_31 Depth=1
	s_or_b32 exec_lo, exec_lo, s6
.LBB22_36:                              ;   in Loop: Header=BB22_31 Depth=1
	s_delay_alu instid0(SALU_CYCLE_1)
	s_or_b32 exec_lo, exec_lo, s5
	s_mov_b32 s1, 0
.LBB22_37:                              ;   in Loop: Header=BB22_31 Depth=1
	s_or_saveexec_b32 s0, s4
	v_mov_b32_e32 v14, s1
	v_mov_b32_e32 v8, v37
	s_xor_b32 exec_lo, exec_lo, s0
	s_cbranch_execz .LBB22_39
; %bb.38:                               ;   in Loop: Header=BB22_31 Depth=1
	scratch_load_b64 v[2:3], v37, off
	v_add_nc_u32_e32 v14, -8, v30
	s_waitcnt vmcnt(0)
	v_and_b32_e32 v8, 0xff, v3
	v_and_b32_e32 v12, 0xff00, v3
	;; [unrolled: 1-line block ×4, first 2 shown]
	v_or3_b32 v2, v2, 0, 0
	s_delay_alu instid0(VALU_DEP_4) | instskip(NEXT) | instid1(VALU_DEP_1)
	v_or_b32_e32 v8, v8, v12
	v_or3_b32 v3, v8, v13, v3
	v_add_nc_u32_e32 v8, 8, v37
.LBB22_39:                              ;   in Loop: Header=BB22_31 Depth=1
	s_or_b32 exec_lo, exec_lo, s0
                                        ; implicit-def: $vgpr12_vgpr13
                                        ; implicit-def: $sgpr1
	s_delay_alu instid0(SALU_CYCLE_1)
	s_mov_b32 s0, exec_lo
	v_cmpx_gt_u32_e32 8, v14
	s_xor_b32 s4, exec_lo, s0
	s_cbranch_execz .LBB22_45
; %bb.40:                               ;   in Loop: Header=BB22_31 Depth=1
	v_mov_b32_e32 v12, 0
	v_mov_b32_e32 v13, 0
	s_mov_b32 s5, exec_lo
	v_cmpx_ne_u32_e32 0, v14
	s_cbranch_execz .LBB22_44
; %bb.41:                               ;   in Loop: Header=BB22_31 Depth=1
	v_mov_b32_e32 v12, 0
	v_mov_b32_e32 v13, 0
	s_mov_b64 s[0:1], 0
	s_mov_b32 s6, 0
	s_mov_b32 s7, 0
	.p2align	6
.LBB22_42:                              ;   Parent Loop BB22_31 Depth=1
                                        ; =>  This Inner Loop Header: Depth=2
	s_delay_alu instid0(SALU_CYCLE_1) | instskip(SKIP_1) | instid1(SALU_CYCLE_1)
	v_dual_mov_b32 v16, s11 :: v_dual_add_nc_u32 v15, s7, v8
	s_add_i32 s7, s7, 1
	v_cmp_eq_u32_e32 vcc_lo, s7, v14
	scratch_load_u8 v15, v15, off
	s_waitcnt vmcnt(0)
	v_and_b32_e32 v15, 0xffff, v15
	s_delay_alu instid0(VALU_DEP_1) | instskip(SKIP_3) | instid1(VALU_DEP_1)
	v_lshlrev_b64 v[15:16], s0, v[15:16]
	s_add_u32 s0, s0, 8
	s_addc_u32 s1, s1, 0
	s_or_b32 s6, vcc_lo, s6
	v_or_b32_e32 v13, v16, v13
	s_delay_alu instid0(VALU_DEP_2)
	v_or_b32_e32 v12, v15, v12
	s_and_not1_b32 exec_lo, exec_lo, s6
	s_cbranch_execnz .LBB22_42
; %bb.43:                               ;   in Loop: Header=BB22_31 Depth=1
	s_or_b32 exec_lo, exec_lo, s6
.LBB22_44:                              ;   in Loop: Header=BB22_31 Depth=1
	s_delay_alu instid0(SALU_CYCLE_1)
	s_or_b32 exec_lo, exec_lo, s5
	s_mov_b32 s1, 0
                                        ; implicit-def: $vgpr14
.LBB22_45:                              ;   in Loop: Header=BB22_31 Depth=1
	s_or_saveexec_b32 s0, s4
	v_mov_b32_e32 v16, s1
	s_xor_b32 exec_lo, exec_lo, s0
	s_cbranch_execz .LBB22_47
; %bb.46:                               ;   in Loop: Header=BB22_31 Depth=1
	scratch_load_b64 v[12:13], v8, off
	v_add_nc_u32_e32 v8, 8, v8
	s_waitcnt vmcnt(0)
	v_and_b32_e32 v15, 0xff, v13
	v_and_b32_e32 v16, 0xff00, v13
	;; [unrolled: 1-line block ×4, first 2 shown]
	v_or3_b32 v12, v12, 0, 0
	s_delay_alu instid0(VALU_DEP_4) | instskip(SKIP_1) | instid1(VALU_DEP_2)
	v_or_b32_e32 v15, v15, v16
	v_add_nc_u32_e32 v16, -8, v14
	v_or3_b32 v13, v15, v17, v13
.LBB22_47:                              ;   in Loop: Header=BB22_31 Depth=1
	s_or_b32 exec_lo, exec_lo, s0
                                        ; implicit-def: $sgpr1
	s_delay_alu instid0(SALU_CYCLE_1) | instskip(NEXT) | instid1(VALU_DEP_1)
	s_mov_b32 s0, exec_lo
	v_cmpx_gt_u32_e32 8, v16
	s_xor_b32 s4, exec_lo, s0
	s_cbranch_execz .LBB22_53
; %bb.48:                               ;   in Loop: Header=BB22_31 Depth=1
	v_mov_b32_e32 v14, 0
	v_mov_b32_e32 v15, 0
	s_mov_b32 s5, exec_lo
	v_cmpx_ne_u32_e32 0, v16
	s_cbranch_execz .LBB22_52
; %bb.49:                               ;   in Loop: Header=BB22_31 Depth=1
	v_mov_b32_e32 v14, 0
	v_mov_b32_e32 v15, 0
	s_mov_b64 s[0:1], 0
	s_mov_b32 s6, 0
	s_mov_b32 s7, 0
	.p2align	6
.LBB22_50:                              ;   Parent Loop BB22_31 Depth=1
                                        ; =>  This Inner Loop Header: Depth=2
	s_delay_alu instid0(SALU_CYCLE_1) | instskip(SKIP_1) | instid1(SALU_CYCLE_1)
	v_dual_mov_b32 v18, s11 :: v_dual_add_nc_u32 v17, s7, v8
	s_add_i32 s7, s7, 1
	v_cmp_eq_u32_e32 vcc_lo, s7, v16
	scratch_load_u8 v17, v17, off
	s_waitcnt vmcnt(0)
	v_and_b32_e32 v17, 0xffff, v17
	s_delay_alu instid0(VALU_DEP_1) | instskip(SKIP_3) | instid1(VALU_DEP_1)
	v_lshlrev_b64 v[17:18], s0, v[17:18]
	s_add_u32 s0, s0, 8
	s_addc_u32 s1, s1, 0
	s_or_b32 s6, vcc_lo, s6
	v_or_b32_e32 v15, v18, v15
	s_delay_alu instid0(VALU_DEP_2)
	v_or_b32_e32 v14, v17, v14
	s_and_not1_b32 exec_lo, exec_lo, s6
	s_cbranch_execnz .LBB22_50
; %bb.51:                               ;   in Loop: Header=BB22_31 Depth=1
	s_or_b32 exec_lo, exec_lo, s6
.LBB22_52:                              ;   in Loop: Header=BB22_31 Depth=1
	s_delay_alu instid0(SALU_CYCLE_1)
	s_or_b32 exec_lo, exec_lo, s5
	s_mov_b32 s1, 0
                                        ; implicit-def: $vgpr16
.LBB22_53:                              ;   in Loop: Header=BB22_31 Depth=1
	s_or_saveexec_b32 s0, s4
	v_mov_b32_e32 v18, s1
	s_xor_b32 exec_lo, exec_lo, s0
	s_cbranch_execz .LBB22_55
; %bb.54:                               ;   in Loop: Header=BB22_31 Depth=1
	scratch_load_b64 v[14:15], v8, off
	v_add_nc_u32_e32 v8, 8, v8
	s_waitcnt vmcnt(0)
	v_and_b32_e32 v17, 0xff, v15
	v_and_b32_e32 v18, 0xff00, v15
	;; [unrolled: 1-line block ×4, first 2 shown]
	v_or3_b32 v14, v14, 0, 0
	s_delay_alu instid0(VALU_DEP_4) | instskip(SKIP_1) | instid1(VALU_DEP_2)
	v_or_b32_e32 v17, v17, v18
	v_add_nc_u32_e32 v18, -8, v16
	v_or3_b32 v15, v17, v19, v15
.LBB22_55:                              ;   in Loop: Header=BB22_31 Depth=1
	s_or_b32 exec_lo, exec_lo, s0
                                        ; implicit-def: $vgpr16_vgpr17
                                        ; implicit-def: $sgpr1
	s_delay_alu instid0(SALU_CYCLE_1) | instskip(NEXT) | instid1(VALU_DEP_1)
	s_mov_b32 s0, exec_lo
	v_cmpx_gt_u32_e32 8, v18
	s_xor_b32 s4, exec_lo, s0
	s_cbranch_execz .LBB22_61
; %bb.56:                               ;   in Loop: Header=BB22_31 Depth=1
	v_mov_b32_e32 v16, 0
	v_mov_b32_e32 v17, 0
	s_mov_b32 s5, exec_lo
	v_cmpx_ne_u32_e32 0, v18
	s_cbranch_execz .LBB22_60
; %bb.57:                               ;   in Loop: Header=BB22_31 Depth=1
	v_mov_b32_e32 v16, 0
	v_mov_b32_e32 v17, 0
	s_mov_b64 s[0:1], 0
	s_mov_b32 s6, 0
	s_mov_b32 s7, 0
	.p2align	6
.LBB22_58:                              ;   Parent Loop BB22_31 Depth=1
                                        ; =>  This Inner Loop Header: Depth=2
	s_delay_alu instid0(SALU_CYCLE_1) | instskip(SKIP_1) | instid1(SALU_CYCLE_1)
	v_dual_mov_b32 v20, s11 :: v_dual_add_nc_u32 v19, s7, v8
	s_add_i32 s7, s7, 1
	v_cmp_eq_u32_e32 vcc_lo, s7, v18
	scratch_load_u8 v19, v19, off
	s_waitcnt vmcnt(0)
	v_and_b32_e32 v19, 0xffff, v19
	s_delay_alu instid0(VALU_DEP_1) | instskip(SKIP_3) | instid1(VALU_DEP_1)
	v_lshlrev_b64 v[19:20], s0, v[19:20]
	s_add_u32 s0, s0, 8
	s_addc_u32 s1, s1, 0
	s_or_b32 s6, vcc_lo, s6
	v_or_b32_e32 v17, v20, v17
	s_delay_alu instid0(VALU_DEP_2)
	v_or_b32_e32 v16, v19, v16
	s_and_not1_b32 exec_lo, exec_lo, s6
	s_cbranch_execnz .LBB22_58
; %bb.59:                               ;   in Loop: Header=BB22_31 Depth=1
	s_or_b32 exec_lo, exec_lo, s6
.LBB22_60:                              ;   in Loop: Header=BB22_31 Depth=1
	s_delay_alu instid0(SALU_CYCLE_1)
	s_or_b32 exec_lo, exec_lo, s5
	s_mov_b32 s1, 0
                                        ; implicit-def: $vgpr18
.LBB22_61:                              ;   in Loop: Header=BB22_31 Depth=1
	s_or_saveexec_b32 s0, s4
	v_mov_b32_e32 v20, s1
	s_xor_b32 exec_lo, exec_lo, s0
	s_cbranch_execz .LBB22_63
; %bb.62:                               ;   in Loop: Header=BB22_31 Depth=1
	scratch_load_b64 v[16:17], v8, off
	v_add_nc_u32_e32 v8, 8, v8
	s_waitcnt vmcnt(0)
	v_and_b32_e32 v19, 0xff, v17
	v_and_b32_e32 v20, 0xff00, v17
	;; [unrolled: 1-line block ×4, first 2 shown]
	v_or3_b32 v16, v16, 0, 0
	s_delay_alu instid0(VALU_DEP_4) | instskip(SKIP_1) | instid1(VALU_DEP_2)
	v_or_b32_e32 v19, v19, v20
	v_add_nc_u32_e32 v20, -8, v18
	v_or3_b32 v17, v19, v21, v17
.LBB22_63:                              ;   in Loop: Header=BB22_31 Depth=1
	s_or_b32 exec_lo, exec_lo, s0
                                        ; implicit-def: $sgpr1
	s_delay_alu instid0(SALU_CYCLE_1) | instskip(NEXT) | instid1(VALU_DEP_1)
	s_mov_b32 s0, exec_lo
	v_cmpx_gt_u32_e32 8, v20
	s_xor_b32 s4, exec_lo, s0
	s_cbranch_execz .LBB22_69
; %bb.64:                               ;   in Loop: Header=BB22_31 Depth=1
	v_mov_b32_e32 v18, 0
	v_mov_b32_e32 v19, 0
	s_mov_b32 s5, exec_lo
	v_cmpx_ne_u32_e32 0, v20
	s_cbranch_execz .LBB22_68
; %bb.65:                               ;   in Loop: Header=BB22_31 Depth=1
	v_mov_b32_e32 v18, 0
	v_mov_b32_e32 v19, 0
	s_mov_b64 s[0:1], 0
	s_mov_b32 s6, 0
	s_mov_b32 s7, 0
	.p2align	6
.LBB22_66:                              ;   Parent Loop BB22_31 Depth=1
                                        ; =>  This Inner Loop Header: Depth=2
	s_delay_alu instid0(SALU_CYCLE_1) | instskip(SKIP_1) | instid1(SALU_CYCLE_1)
	v_dual_mov_b32 v22, s11 :: v_dual_add_nc_u32 v21, s7, v8
	s_add_i32 s7, s7, 1
	v_cmp_eq_u32_e32 vcc_lo, s7, v20
	scratch_load_u8 v21, v21, off
	s_waitcnt vmcnt(0)
	v_and_b32_e32 v21, 0xffff, v21
	s_delay_alu instid0(VALU_DEP_1) | instskip(SKIP_3) | instid1(VALU_DEP_1)
	v_lshlrev_b64 v[21:22], s0, v[21:22]
	s_add_u32 s0, s0, 8
	s_addc_u32 s1, s1, 0
	s_or_b32 s6, vcc_lo, s6
	v_or_b32_e32 v19, v22, v19
	s_delay_alu instid0(VALU_DEP_2)
	v_or_b32_e32 v18, v21, v18
	s_and_not1_b32 exec_lo, exec_lo, s6
	s_cbranch_execnz .LBB22_66
; %bb.67:                               ;   in Loop: Header=BB22_31 Depth=1
	s_or_b32 exec_lo, exec_lo, s6
.LBB22_68:                              ;   in Loop: Header=BB22_31 Depth=1
	s_delay_alu instid0(SALU_CYCLE_1)
	s_or_b32 exec_lo, exec_lo, s5
	s_mov_b32 s1, 0
                                        ; implicit-def: $vgpr20
.LBB22_69:                              ;   in Loop: Header=BB22_31 Depth=1
	s_or_saveexec_b32 s0, s4
	v_mov_b32_e32 v22, s1
	s_xor_b32 exec_lo, exec_lo, s0
	s_cbranch_execz .LBB22_71
; %bb.70:                               ;   in Loop: Header=BB22_31 Depth=1
	scratch_load_b64 v[18:19], v8, off
	v_add_nc_u32_e32 v8, 8, v8
	s_waitcnt vmcnt(0)
	v_and_b32_e32 v21, 0xff, v19
	v_and_b32_e32 v22, 0xff00, v19
	;; [unrolled: 1-line block ×4, first 2 shown]
	v_or3_b32 v18, v18, 0, 0
	s_delay_alu instid0(VALU_DEP_4) | instskip(SKIP_1) | instid1(VALU_DEP_2)
	v_or_b32_e32 v21, v21, v22
	v_add_nc_u32_e32 v22, -8, v20
	v_or3_b32 v19, v21, v23, v19
.LBB22_71:                              ;   in Loop: Header=BB22_31 Depth=1
	s_or_b32 exec_lo, exec_lo, s0
                                        ; implicit-def: $vgpr20_vgpr21
                                        ; implicit-def: $sgpr1
	s_delay_alu instid0(SALU_CYCLE_1) | instskip(NEXT) | instid1(VALU_DEP_1)
	s_mov_b32 s0, exec_lo
	v_cmpx_gt_u32_e32 8, v22
	s_xor_b32 s4, exec_lo, s0
	s_cbranch_execz .LBB22_77
; %bb.72:                               ;   in Loop: Header=BB22_31 Depth=1
	v_mov_b32_e32 v20, 0
	v_mov_b32_e32 v21, 0
	s_mov_b32 s5, exec_lo
	v_cmpx_ne_u32_e32 0, v22
	s_cbranch_execz .LBB22_76
; %bb.73:                               ;   in Loop: Header=BB22_31 Depth=1
	v_mov_b32_e32 v20, 0
	v_mov_b32_e32 v21, 0
	s_mov_b64 s[0:1], 0
	s_mov_b32 s6, 0
	s_mov_b32 s7, 0
	.p2align	6
.LBB22_74:                              ;   Parent Loop BB22_31 Depth=1
                                        ; =>  This Inner Loop Header: Depth=2
	s_delay_alu instid0(SALU_CYCLE_1) | instskip(SKIP_1) | instid1(SALU_CYCLE_1)
	v_dual_mov_b32 v24, s11 :: v_dual_add_nc_u32 v23, s7, v8
	s_add_i32 s7, s7, 1
	v_cmp_eq_u32_e32 vcc_lo, s7, v22
	scratch_load_u8 v23, v23, off
	s_waitcnt vmcnt(0)
	v_and_b32_e32 v23, 0xffff, v23
	s_delay_alu instid0(VALU_DEP_1) | instskip(SKIP_3) | instid1(VALU_DEP_1)
	v_lshlrev_b64 v[23:24], s0, v[23:24]
	s_add_u32 s0, s0, 8
	s_addc_u32 s1, s1, 0
	s_or_b32 s6, vcc_lo, s6
	v_or_b32_e32 v21, v24, v21
	s_delay_alu instid0(VALU_DEP_2)
	v_or_b32_e32 v20, v23, v20
	s_and_not1_b32 exec_lo, exec_lo, s6
	s_cbranch_execnz .LBB22_74
; %bb.75:                               ;   in Loop: Header=BB22_31 Depth=1
	s_or_b32 exec_lo, exec_lo, s6
.LBB22_76:                              ;   in Loop: Header=BB22_31 Depth=1
	s_delay_alu instid0(SALU_CYCLE_1)
	s_or_b32 exec_lo, exec_lo, s5
	s_mov_b32 s1, 0
                                        ; implicit-def: $vgpr22
.LBB22_77:                              ;   in Loop: Header=BB22_31 Depth=1
	s_or_saveexec_b32 s0, s4
	v_mov_b32_e32 v24, s1
	s_xor_b32 exec_lo, exec_lo, s0
	s_cbranch_execz .LBB22_79
; %bb.78:                               ;   in Loop: Header=BB22_31 Depth=1
	scratch_load_b64 v[20:21], v8, off
	v_add_nc_u32_e32 v8, 8, v8
	s_waitcnt vmcnt(0)
	v_and_b32_e32 v23, 0xff, v21
	v_and_b32_e32 v24, 0xff00, v21
	;; [unrolled: 1-line block ×4, first 2 shown]
	v_or3_b32 v20, v20, 0, 0
	s_delay_alu instid0(VALU_DEP_4) | instskip(SKIP_1) | instid1(VALU_DEP_2)
	v_or_b32_e32 v23, v23, v24
	v_add_nc_u32_e32 v24, -8, v22
	v_or3_b32 v21, v23, v25, v21
.LBB22_79:                              ;   in Loop: Header=BB22_31 Depth=1
	s_or_b32 exec_lo, exec_lo, s0
	s_delay_alu instid0(SALU_CYCLE_1) | instskip(NEXT) | instid1(VALU_DEP_1)
	s_mov_b32 s0, exec_lo
	v_cmpx_gt_u32_e32 8, v24
	s_xor_b32 s4, exec_lo, s0
	s_cbranch_execz .LBB22_85
; %bb.80:                               ;   in Loop: Header=BB22_31 Depth=1
	v_mov_b32_e32 v22, 0
	v_mov_b32_e32 v23, 0
	s_mov_b32 s5, exec_lo
	v_cmpx_ne_u32_e32 0, v24
	s_cbranch_execz .LBB22_84
; %bb.81:                               ;   in Loop: Header=BB22_31 Depth=1
	v_mov_b32_e32 v22, 0
	v_mov_b32_e32 v23, 0
	s_mov_b64 s[0:1], 0
	s_mov_b32 s6, 0
	.p2align	6
.LBB22_82:                              ;   Parent Loop BB22_31 Depth=1
                                        ; =>  This Inner Loop Header: Depth=2
	scratch_load_u8 v25, v8, off
	v_mov_b32_e32 v26, s11
	v_add_nc_u32_e32 v24, -1, v24
	v_add_nc_u32_e32 v8, 1, v8
	s_delay_alu instid0(VALU_DEP_2) | instskip(SKIP_2) | instid1(VALU_DEP_1)
	v_cmp_eq_u32_e32 vcc_lo, 0, v24
	s_waitcnt vmcnt(0)
	v_and_b32_e32 v25, 0xffff, v25
	v_lshlrev_b64 v[25:26], s0, v[25:26]
	s_add_u32 s0, s0, 8
	s_addc_u32 s1, s1, 0
	s_or_b32 s6, vcc_lo, s6
	s_delay_alu instid0(VALU_DEP_1) | instskip(NEXT) | instid1(VALU_DEP_2)
	v_or_b32_e32 v23, v26, v23
	v_or_b32_e32 v22, v25, v22
	s_and_not1_b32 exec_lo, exec_lo, s6
	s_cbranch_execnz .LBB22_82
; %bb.83:                               ;   in Loop: Header=BB22_31 Depth=1
	s_or_b32 exec_lo, exec_lo, s6
.LBB22_84:                              ;   in Loop: Header=BB22_31 Depth=1
	s_delay_alu instid0(SALU_CYCLE_1)
	s_or_b32 exec_lo, exec_lo, s5
                                        ; implicit-def: $vgpr8
.LBB22_85:                              ;   in Loop: Header=BB22_31 Depth=1
	s_and_not1_saveexec_b32 s0, s4
	s_cbranch_execz .LBB22_87
; %bb.86:                               ;   in Loop: Header=BB22_31 Depth=1
	scratch_load_b64 v[22:23], v8, off
	s_waitcnt vmcnt(0)
	v_and_b32_e32 v8, 0xff, v23
	v_and_b32_e32 v24, 0xff00, v23
	;; [unrolled: 1-line block ×4, first 2 shown]
	v_or3_b32 v22, v22, 0, 0
	s_delay_alu instid0(VALU_DEP_4) | instskip(NEXT) | instid1(VALU_DEP_1)
	v_or_b32_e32 v8, v8, v24
	v_or3_b32 v23, v8, v25, v23
.LBB22_87:                              ;   in Loop: Header=BB22_31 Depth=1
	s_or_b32 exec_lo, exec_lo, s0
	v_readfirstlane_b32 s0, v35
	v_mov_b32_e32 v32, 0
	v_mov_b32_e32 v33, 0
	s_delay_alu instid0(VALU_DEP_3) | instskip(NEXT) | instid1(VALU_DEP_1)
	v_cmp_eq_u32_e64 s0, s0, v35
	s_and_saveexec_b32 s1, s0
	s_cbranch_execz .LBB22_93
; %bb.88:                               ;   in Loop: Header=BB22_31 Depth=1
	global_load_b64 v[26:27], v9, s[2:3] offset:24 glc
	s_waitcnt vmcnt(0)
	buffer_gl1_inv
	buffer_gl0_inv
	s_clause 0x1
	global_load_b64 v[24:25], v9, s[2:3] offset:40
	global_load_b64 v[32:33], v9, s[2:3]
	s_mov_b32 s4, exec_lo
	s_waitcnt vmcnt(1)
	v_and_b32_e32 v8, v25, v27
	v_and_b32_e32 v24, v24, v26
	s_delay_alu instid0(VALU_DEP_2) | instskip(NEXT) | instid1(VALU_DEP_2)
	v_mul_lo_u32 v8, v8, 24
	v_mul_hi_u32 v25, v24, 24
	v_mul_lo_u32 v24, v24, 24
	s_delay_alu instid0(VALU_DEP_2) | instskip(SKIP_1) | instid1(VALU_DEP_2)
	v_add_nc_u32_e32 v8, v25, v8
	s_waitcnt vmcnt(0)
	v_add_co_u32 v24, vcc_lo, v32, v24
	s_delay_alu instid0(VALU_DEP_2)
	v_add_co_ci_u32_e32 v25, vcc_lo, v33, v8, vcc_lo
	global_load_b64 v[24:25], v[24:25], off glc
	s_waitcnt vmcnt(0)
	global_atomic_cmpswap_b64 v[32:33], v9, v[24:27], s[2:3] offset:24 glc
	s_waitcnt vmcnt(0)
	buffer_gl1_inv
	buffer_gl0_inv
	v_cmpx_ne_u64_e64 v[32:33], v[26:27]
	s_cbranch_execz .LBB22_92
; %bb.89:                               ;   in Loop: Header=BB22_31 Depth=1
	s_mov_b32 s5, 0
	.p2align	6
.LBB22_90:                              ;   Parent Loop BB22_31 Depth=1
                                        ; =>  This Inner Loop Header: Depth=2
	s_sleep 1
	s_clause 0x1
	global_load_b64 v[24:25], v9, s[2:3] offset:40
	global_load_b64 v[38:39], v9, s[2:3]
	v_dual_mov_b32 v26, v32 :: v_dual_mov_b32 v27, v33
	s_waitcnt vmcnt(1)
	s_delay_alu instid0(VALU_DEP_1) | instskip(SKIP_1) | instid1(VALU_DEP_1)
	v_and_b32_e32 v8, v24, v26
	s_waitcnt vmcnt(0)
	v_mad_u64_u32 v[32:33], null, v8, 24, v[38:39]
	v_and_b32_e32 v38, v25, v27
	s_delay_alu instid0(VALU_DEP_2) | instskip(NEXT) | instid1(VALU_DEP_1)
	v_mov_b32_e32 v8, v33
	v_mad_u64_u32 v[24:25], null, v38, 24, v[8:9]
	s_delay_alu instid0(VALU_DEP_1)
	v_mov_b32_e32 v33, v24
	global_load_b64 v[24:25], v[32:33], off glc
	s_waitcnt vmcnt(0)
	global_atomic_cmpswap_b64 v[32:33], v9, v[24:27], s[2:3] offset:24 glc
	s_waitcnt vmcnt(0)
	buffer_gl1_inv
	buffer_gl0_inv
	v_cmp_eq_u64_e32 vcc_lo, v[32:33], v[26:27]
	s_or_b32 s5, vcc_lo, s5
	s_delay_alu instid0(SALU_CYCLE_1)
	s_and_not1_b32 exec_lo, exec_lo, s5
	s_cbranch_execnz .LBB22_90
; %bb.91:                               ;   in Loop: Header=BB22_31 Depth=1
	s_or_b32 exec_lo, exec_lo, s5
.LBB22_92:                              ;   in Loop: Header=BB22_31 Depth=1
	s_delay_alu instid0(SALU_CYCLE_1)
	s_or_b32 exec_lo, exec_lo, s4
.LBB22_93:                              ;   in Loop: Header=BB22_31 Depth=1
	s_delay_alu instid0(SALU_CYCLE_1)
	s_or_b32 exec_lo, exec_lo, s1
	s_clause 0x1
	global_load_b64 v[38:39], v9, s[2:3] offset:40
	global_load_b128 v[24:27], v9, s[2:3]
	v_readfirstlane_b32 s4, v32
	v_readfirstlane_b32 s5, v33
	s_mov_b32 s1, exec_lo
	s_waitcnt vmcnt(1)
	v_readfirstlane_b32 s6, v38
	v_readfirstlane_b32 s7, v39
	s_delay_alu instid0(VALU_DEP_1) | instskip(NEXT) | instid1(SALU_CYCLE_1)
	s_and_b64 s[6:7], s[4:5], s[6:7]
	s_mul_i32 s12, s7, 24
	s_mul_hi_u32 s13, s6, 24
	s_mul_i32 s14, s6, 24
	s_add_i32 s13, s13, s12
	s_waitcnt vmcnt(0)
	v_add_co_u32 v32, vcc_lo, v24, s14
	v_add_co_ci_u32_e32 v33, vcc_lo, s13, v25, vcc_lo
	s_and_saveexec_b32 s12, s0
	s_cbranch_execz .LBB22_95
; %bb.94:                               ;   in Loop: Header=BB22_31 Depth=1
	v_mov_b32_e32 v8, s1
	global_store_b128 v[32:33], v[8:11], off offset:8
.LBB22_95:                              ;   in Loop: Header=BB22_31 Depth=1
	s_or_b32 exec_lo, exec_lo, s12
	v_cmp_lt_u64_e32 vcc_lo, 56, v[28:29]
	v_or_b32_e32 v8, 0, v1
	v_or_b32_e32 v38, v0, v36
	v_lshl_add_u32 v39, v30, 2, 28
	s_lshl_b64 s[6:7], s[6:7], 12
	s_delay_alu instid0(SALU_CYCLE_1) | instskip(NEXT) | instid1(VALU_DEP_1)
	v_add_co_u32 v26, s1, v26, s6
	v_add_co_ci_u32_e64 v27, s1, s7, v27, s1
	v_dual_cndmask_b32 v1, v8, v1 :: v_dual_cndmask_b32 v0, v38, v0
	v_and_b32_e32 v8, 0x1e0, v39
	s_delay_alu instid0(VALU_DEP_4) | instskip(NEXT) | instid1(VALU_DEP_4)
	v_readfirstlane_b32 s6, v26
	v_readfirstlane_b32 s7, v27
	s_delay_alu instid0(VALU_DEP_3)
	v_and_or_b32 v0, 0xffffff1f, v0, v8
	s_clause 0x3
	global_store_b128 v34, v[0:3], s[6:7]
	global_store_b128 v34, v[12:15], s[6:7] offset:16
	global_store_b128 v34, v[16:19], s[6:7] offset:32
	;; [unrolled: 1-line block ×3, first 2 shown]
	s_and_saveexec_b32 s1, s0
	s_cbranch_execz .LBB22_103
; %bb.96:                               ;   in Loop: Header=BB22_31 Depth=1
	s_clause 0x1
	global_load_b64 v[16:17], v9, s[2:3] offset:32 glc
	global_load_b64 v[0:1], v9, s[2:3] offset:40
	v_dual_mov_b32 v14, s4 :: v_dual_mov_b32 v15, s5
	s_waitcnt vmcnt(0)
	v_readfirstlane_b32 s6, v0
	v_readfirstlane_b32 s7, v1
	s_delay_alu instid0(VALU_DEP_1) | instskip(NEXT) | instid1(SALU_CYCLE_1)
	s_and_b64 s[6:7], s[6:7], s[4:5]
	s_mul_i32 s7, s7, 24
	s_mul_hi_u32 s12, s6, 24
	s_mul_i32 s6, s6, 24
	s_add_i32 s12, s12, s7
	v_add_co_u32 v12, vcc_lo, v24, s6
	v_add_co_ci_u32_e32 v13, vcc_lo, s12, v25, vcc_lo
	s_mov_b32 s6, exec_lo
	global_store_b64 v[12:13], v[16:17], off
	s_waitcnt_vscnt null, 0x0
	global_atomic_cmpswap_b64 v[2:3], v9, v[14:17], s[2:3] offset:32 glc
	s_waitcnt vmcnt(0)
	v_cmpx_ne_u64_e64 v[2:3], v[16:17]
	s_cbranch_execz .LBB22_99
; %bb.97:                               ;   in Loop: Header=BB22_31 Depth=1
	s_mov_b32 s7, 0
.LBB22_98:                              ;   Parent Loop BB22_31 Depth=1
                                        ; =>  This Inner Loop Header: Depth=2
	v_dual_mov_b32 v0, s4 :: v_dual_mov_b32 v1, s5
	s_sleep 1
	global_store_b64 v[12:13], v[2:3], off
	s_waitcnt_vscnt null, 0x0
	global_atomic_cmpswap_b64 v[0:1], v9, v[0:3], s[2:3] offset:32 glc
	s_waitcnt vmcnt(0)
	v_cmp_eq_u64_e32 vcc_lo, v[0:1], v[2:3]
	v_dual_mov_b32 v3, v1 :: v_dual_mov_b32 v2, v0
	s_or_b32 s7, vcc_lo, s7
	s_delay_alu instid0(SALU_CYCLE_1)
	s_and_not1_b32 exec_lo, exec_lo, s7
	s_cbranch_execnz .LBB22_98
.LBB22_99:                              ;   in Loop: Header=BB22_31 Depth=1
	s_or_b32 exec_lo, exec_lo, s6
	global_load_b64 v[0:1], v9, s[2:3] offset:16
	s_mov_b32 s7, exec_lo
	s_mov_b32 s6, exec_lo
	v_mbcnt_lo_u32_b32 v2, s7, 0
	s_delay_alu instid0(VALU_DEP_1)
	v_cmpx_eq_u32_e32 0, v2
	s_cbranch_execz .LBB22_101
; %bb.100:                              ;   in Loop: Header=BB22_31 Depth=1
	s_bcnt1_i32_b32 s7, s7
	s_delay_alu instid0(SALU_CYCLE_1)
	v_mov_b32_e32 v8, s7
	s_waitcnt vmcnt(0)
	global_atomic_add_u64 v[0:1], v[8:9], off offset:8
.LBB22_101:                             ;   in Loop: Header=BB22_31 Depth=1
	s_or_b32 exec_lo, exec_lo, s6
	s_waitcnt vmcnt(0)
	global_load_b64 v[2:3], v[0:1], off offset:16
	s_waitcnt vmcnt(0)
	v_cmp_eq_u64_e32 vcc_lo, 0, v[2:3]
	s_cbranch_vccnz .LBB22_103
; %bb.102:                              ;   in Loop: Header=BB22_31 Depth=1
	global_load_b32 v8, v[0:1], off offset:24
	s_waitcnt vmcnt(0)
	v_and_b32_e32 v0, 0xffffff, v8
	s_waitcnt_vscnt null, 0x0
	global_store_b64 v[2:3], v[8:9], off
	v_readfirstlane_b32 m0, v0
	s_sendmsg sendmsg(MSG_INTERRUPT)
.LBB22_103:                             ;   in Loop: Header=BB22_31 Depth=1
	s_or_b32 exec_lo, exec_lo, s1
	v_add_co_u32 v0, vcc_lo, v26, v34
	v_add_co_ci_u32_e32 v1, vcc_lo, 0, v27, vcc_lo
	s_branch .LBB22_107
	.p2align	6
.LBB22_104:                             ;   in Loop: Header=BB22_107 Depth=2
	s_or_b32 exec_lo, exec_lo, s1
	s_delay_alu instid0(VALU_DEP_1) | instskip(NEXT) | instid1(VALU_DEP_1)
	v_readfirstlane_b32 s1, v2
	s_cmp_eq_u32 s1, 0
	s_cbranch_scc1 .LBB22_106
; %bb.105:                              ;   in Loop: Header=BB22_107 Depth=2
	s_sleep 1
	s_cbranch_execnz .LBB22_107
	s_branch .LBB22_109
	.p2align	6
.LBB22_106:                             ;   in Loop: Header=BB22_31 Depth=1
	s_branch .LBB22_109
.LBB22_107:                             ;   Parent Loop BB22_31 Depth=1
                                        ; =>  This Inner Loop Header: Depth=2
	v_mov_b32_e32 v2, 1
	s_and_saveexec_b32 s1, s0
	s_cbranch_execz .LBB22_104
; %bb.108:                              ;   in Loop: Header=BB22_107 Depth=2
	global_load_b32 v2, v[32:33], off offset:20 glc
	s_waitcnt vmcnt(0)
	buffer_gl1_inv
	buffer_gl0_inv
	v_and_b32_e32 v2, 1, v2
	s_branch .LBB22_104
.LBB22_109:                             ;   in Loop: Header=BB22_31 Depth=1
	global_load_b128 v[0:3], v[0:1], off
	s_and_saveexec_b32 s1, s0
	s_cbranch_execz .LBB22_30
; %bb.110:                              ;   in Loop: Header=BB22_31 Depth=1
	s_clause 0x2
	global_load_b64 v[2:3], v9, s[2:3] offset:40
	global_load_b64 v[16:17], v9, s[2:3] offset:24 glc
	global_load_b64 v[14:15], v9, s[2:3]
	s_waitcnt vmcnt(2)
	v_add_co_u32 v8, vcc_lo, v2, 1
	v_add_co_ci_u32_e32 v18, vcc_lo, 0, v3, vcc_lo
	s_delay_alu instid0(VALU_DEP_2) | instskip(NEXT) | instid1(VALU_DEP_2)
	v_add_co_u32 v12, vcc_lo, v8, s4
	v_add_co_ci_u32_e32 v13, vcc_lo, s5, v18, vcc_lo
	s_delay_alu instid0(VALU_DEP_1) | instskip(SKIP_1) | instid1(VALU_DEP_1)
	v_cmp_eq_u64_e32 vcc_lo, 0, v[12:13]
	v_dual_cndmask_b32 v13, v13, v18 :: v_dual_cndmask_b32 v12, v12, v8
	v_and_b32_e32 v3, v13, v3
	s_delay_alu instid0(VALU_DEP_2) | instskip(NEXT) | instid1(VALU_DEP_1)
	v_and_b32_e32 v2, v12, v2
	v_mul_hi_u32 v8, v2, 24
	v_mul_lo_u32 v2, v2, 24
	s_waitcnt vmcnt(0)
	s_delay_alu instid0(VALU_DEP_1) | instskip(SKIP_2) | instid1(VALU_DEP_1)
	v_add_co_u32 v2, vcc_lo, v14, v2
	v_mov_b32_e32 v14, v16
	v_mul_lo_u32 v3, v3, 24
	v_add_nc_u32_e32 v3, v8, v3
	s_delay_alu instid0(VALU_DEP_1)
	v_add_co_ci_u32_e32 v3, vcc_lo, v15, v3, vcc_lo
	v_mov_b32_e32 v15, v17
	global_store_b64 v[2:3], v[16:17], off
	s_waitcnt_vscnt null, 0x0
	global_atomic_cmpswap_b64 v[14:15], v9, v[12:15], s[2:3] offset:24 glc
	s_waitcnt vmcnt(0)
	v_cmp_ne_u64_e32 vcc_lo, v[14:15], v[16:17]
	s_and_b32 exec_lo, exec_lo, vcc_lo
	s_cbranch_execz .LBB22_30
; %bb.111:                              ;   in Loop: Header=BB22_31 Depth=1
	s_mov_b32 s0, 0
.LBB22_112:                             ;   Parent Loop BB22_31 Depth=1
                                        ; =>  This Inner Loop Header: Depth=2
	s_sleep 1
	global_store_b64 v[2:3], v[14:15], off
	s_waitcnt_vscnt null, 0x0
	global_atomic_cmpswap_b64 v[16:17], v9, v[12:15], s[2:3] offset:24 glc
	s_waitcnt vmcnt(0)
	v_cmp_eq_u64_e32 vcc_lo, v[16:17], v[14:15]
	v_dual_mov_b32 v14, v16 :: v_dual_mov_b32 v15, v17
	s_or_b32 s0, vcc_lo, s0
	s_delay_alu instid0(SALU_CYCLE_1)
	s_and_not1_b32 exec_lo, exec_lo, s0
	s_cbranch_execnz .LBB22_112
	s_branch .LBB22_30
.LBB22_113:
                                        ; implicit-def: $vgpr0_vgpr1
	s_cbranch_execnz .LBB22_115
	s_branch .LBB22_142
.LBB22_114:
	s_or_b32 exec_lo, exec_lo, s10
	s_branch .LBB22_142
.LBB22_115:
	v_readfirstlane_b32 s0, v35
	v_mov_b32_e32 v9, 0
	v_mov_b32_e32 v10, 0
	s_delay_alu instid0(VALU_DEP_3) | instskip(NEXT) | instid1(VALU_DEP_1)
	v_cmp_eq_u32_e64 s0, s0, v35
	s_and_saveexec_b32 s1, s0
	s_cbranch_execz .LBB22_121
; %bb.116:
	s_waitcnt vmcnt(0)
	v_mov_b32_e32 v0, 0
	s_mov_b32 s4, exec_lo
	global_load_b64 v[11:12], v0, s[2:3] offset:24 glc
	s_waitcnt vmcnt(0)
	buffer_gl1_inv
	buffer_gl0_inv
	s_clause 0x1
	global_load_b64 v[1:2], v0, s[2:3] offset:40
	global_load_b64 v[8:9], v0, s[2:3]
	s_waitcnt vmcnt(1)
	v_and_b32_e32 v1, v1, v11
	v_and_b32_e32 v2, v2, v12
	s_delay_alu instid0(VALU_DEP_2) | instskip(NEXT) | instid1(VALU_DEP_2)
	v_mul_hi_u32 v3, v1, 24
	v_mul_lo_u32 v2, v2, 24
	v_mul_lo_u32 v1, v1, 24
	s_delay_alu instid0(VALU_DEP_2) | instskip(SKIP_1) | instid1(VALU_DEP_2)
	v_add_nc_u32_e32 v2, v3, v2
	s_waitcnt vmcnt(0)
	v_add_co_u32 v1, vcc_lo, v8, v1
	s_delay_alu instid0(VALU_DEP_2)
	v_add_co_ci_u32_e32 v2, vcc_lo, v9, v2, vcc_lo
	global_load_b64 v[9:10], v[1:2], off glc
	s_waitcnt vmcnt(0)
	global_atomic_cmpswap_b64 v[9:10], v0, v[9:12], s[2:3] offset:24 glc
	s_waitcnt vmcnt(0)
	buffer_gl1_inv
	buffer_gl0_inv
	v_cmpx_ne_u64_e64 v[9:10], v[11:12]
	s_cbranch_execz .LBB22_120
; %bb.117:
	s_mov_b32 s5, 0
	.p2align	6
.LBB22_118:                             ; =>This Inner Loop Header: Depth=1
	s_sleep 1
	s_clause 0x1
	global_load_b64 v[1:2], v0, s[2:3] offset:40
	global_load_b64 v[13:14], v0, s[2:3]
	v_dual_mov_b32 v12, v10 :: v_dual_mov_b32 v11, v9
	s_waitcnt vmcnt(1)
	s_delay_alu instid0(VALU_DEP_1) | instskip(SKIP_1) | instid1(VALU_DEP_1)
	v_and_b32_e32 v1, v1, v11
	s_waitcnt vmcnt(0)
	v_mad_u64_u32 v[8:9], null, v1, 24, v[13:14]
	s_delay_alu instid0(VALU_DEP_1) | instskip(NEXT) | instid1(VALU_DEP_1)
	v_dual_mov_b32 v1, v9 :: v_dual_and_b32 v10, v2, v12
	v_mad_u64_u32 v[2:3], null, v10, 24, v[1:2]
	s_delay_alu instid0(VALU_DEP_1)
	v_mov_b32_e32 v9, v2
	global_load_b64 v[9:10], v[8:9], off glc
	s_waitcnt vmcnt(0)
	global_atomic_cmpswap_b64 v[9:10], v0, v[9:12], s[2:3] offset:24 glc
	s_waitcnt vmcnt(0)
	buffer_gl1_inv
	buffer_gl0_inv
	v_cmp_eq_u64_e32 vcc_lo, v[9:10], v[11:12]
	s_or_b32 s5, vcc_lo, s5
	s_delay_alu instid0(SALU_CYCLE_1)
	s_and_not1_b32 exec_lo, exec_lo, s5
	s_cbranch_execnz .LBB22_118
; %bb.119:
	s_or_b32 exec_lo, exec_lo, s5
.LBB22_120:
	s_delay_alu instid0(SALU_CYCLE_1)
	s_or_b32 exec_lo, exec_lo, s4
.LBB22_121:
	s_delay_alu instid0(SALU_CYCLE_1)
	s_or_b32 exec_lo, exec_lo, s1
	v_mov_b32_e32 v8, 0
	v_readfirstlane_b32 s4, v9
	v_readfirstlane_b32 s5, v10
	s_mov_b32 s1, exec_lo
	s_clause 0x1
	global_load_b64 v[11:12], v8, s[2:3] offset:40
	global_load_b128 v[0:3], v8, s[2:3]
	s_waitcnt vmcnt(1)
	v_readfirstlane_b32 s6, v11
	v_readfirstlane_b32 s7, v12
	s_delay_alu instid0(VALU_DEP_1) | instskip(NEXT) | instid1(SALU_CYCLE_1)
	s_and_b64 s[6:7], s[4:5], s[6:7]
	s_mul_i32 s10, s7, 24
	s_mul_hi_u32 s11, s6, 24
	s_mul_i32 s12, s6, 24
	s_add_i32 s11, s11, s10
	s_waitcnt vmcnt(0)
	v_add_co_u32 v10, vcc_lo, v0, s12
	v_add_co_ci_u32_e32 v11, vcc_lo, s11, v1, vcc_lo
	s_and_saveexec_b32 s10, s0
	s_cbranch_execz .LBB22_123
; %bb.122:
	v_dual_mov_b32 v12, s1 :: v_dual_mov_b32 v13, v8
	v_dual_mov_b32 v14, 2 :: v_dual_mov_b32 v15, 1
	global_store_b128 v[10:11], v[12:15], off offset:8
.LBB22_123:
	s_or_b32 exec_lo, exec_lo, s10
	s_lshl_b64 s[6:7], s[6:7], 12
	s_mov_b32 s12, 0
	v_add_co_u32 v2, vcc_lo, v2, s6
	v_add_co_ci_u32_e32 v3, vcc_lo, s7, v3, vcc_lo
	s_mov_b32 s15, s12
	s_delay_alu instid0(VALU_DEP_2)
	v_add_co_u32 v12, vcc_lo, v2, v34
	s_mov_b32 s13, s12
	s_mov_b32 s14, s12
	v_and_or_b32 v6, 0xffffff1f, v6, 32
	v_mov_b32_e32 v9, v8
	v_readfirstlane_b32 s6, v2
	v_readfirstlane_b32 s7, v3
	v_dual_mov_b32 v17, s15 :: v_dual_mov_b32 v14, s12
	v_add_co_ci_u32_e32 v13, vcc_lo, 0, v3, vcc_lo
	v_dual_mov_b32 v16, s14 :: v_dual_mov_b32 v15, s13
	s_clause 0x3
	global_store_b128 v34, v[6:9], s[6:7]
	global_store_b128 v34, v[14:17], s[6:7] offset:16
	global_store_b128 v34, v[14:17], s[6:7] offset:32
	global_store_b128 v34, v[14:17], s[6:7] offset:48
	s_and_saveexec_b32 s1, s0
	s_cbranch_execz .LBB22_131
; %bb.124:
	v_dual_mov_b32 v8, 0 :: v_dual_mov_b32 v15, s5
	v_mov_b32_e32 v14, s4
	s_clause 0x1
	global_load_b64 v[16:17], v8, s[2:3] offset:32 glc
	global_load_b64 v[2:3], v8, s[2:3] offset:40
	s_waitcnt vmcnt(0)
	v_readfirstlane_b32 s6, v2
	v_readfirstlane_b32 s7, v3
	s_delay_alu instid0(VALU_DEP_1) | instskip(NEXT) | instid1(SALU_CYCLE_1)
	s_and_b64 s[6:7], s[6:7], s[4:5]
	s_mul_i32 s7, s7, 24
	s_mul_hi_u32 s10, s6, 24
	s_mul_i32 s6, s6, 24
	s_add_i32 s10, s10, s7
	v_add_co_u32 v6, vcc_lo, v0, s6
	v_add_co_ci_u32_e32 v7, vcc_lo, s10, v1, vcc_lo
	s_mov_b32 s6, exec_lo
	global_store_b64 v[6:7], v[16:17], off
	s_waitcnt_vscnt null, 0x0
	global_atomic_cmpswap_b64 v[2:3], v8, v[14:17], s[2:3] offset:32 glc
	s_waitcnt vmcnt(0)
	v_cmpx_ne_u64_e64 v[2:3], v[16:17]
	s_cbranch_execz .LBB22_127
; %bb.125:
	s_mov_b32 s7, 0
.LBB22_126:                             ; =>This Inner Loop Header: Depth=1
	v_dual_mov_b32 v0, s4 :: v_dual_mov_b32 v1, s5
	s_sleep 1
	global_store_b64 v[6:7], v[2:3], off
	s_waitcnt_vscnt null, 0x0
	global_atomic_cmpswap_b64 v[0:1], v8, v[0:3], s[2:3] offset:32 glc
	s_waitcnt vmcnt(0)
	v_cmp_eq_u64_e32 vcc_lo, v[0:1], v[2:3]
	v_dual_mov_b32 v3, v1 :: v_dual_mov_b32 v2, v0
	s_or_b32 s7, vcc_lo, s7
	s_delay_alu instid0(SALU_CYCLE_1)
	s_and_not1_b32 exec_lo, exec_lo, s7
	s_cbranch_execnz .LBB22_126
.LBB22_127:
	s_or_b32 exec_lo, exec_lo, s6
	v_mov_b32_e32 v3, 0
	s_mov_b32 s7, exec_lo
	s_mov_b32 s6, exec_lo
	v_mbcnt_lo_u32_b32 v2, s7, 0
	global_load_b64 v[0:1], v3, s[2:3] offset:16
	v_cmpx_eq_u32_e32 0, v2
	s_cbranch_execz .LBB22_129
; %bb.128:
	s_bcnt1_i32_b32 s7, s7
	s_delay_alu instid0(SALU_CYCLE_1)
	v_mov_b32_e32 v2, s7
	s_waitcnt vmcnt(0)
	global_atomic_add_u64 v[0:1], v[2:3], off offset:8
.LBB22_129:
	s_or_b32 exec_lo, exec_lo, s6
	s_waitcnt vmcnt(0)
	global_load_b64 v[2:3], v[0:1], off offset:16
	s_waitcnt vmcnt(0)
	v_cmp_eq_u64_e32 vcc_lo, 0, v[2:3]
	s_cbranch_vccnz .LBB22_131
; %bb.130:
	global_load_b32 v0, v[0:1], off offset:24
	s_waitcnt vmcnt(0)
	v_dual_mov_b32 v1, 0 :: v_dual_and_b32 v6, 0xffffff, v0
	s_waitcnt_vscnt null, 0x0
	global_store_b64 v[2:3], v[0:1], off
	v_readfirstlane_b32 m0, v6
	s_sendmsg sendmsg(MSG_INTERRUPT)
.LBB22_131:
	s_or_b32 exec_lo, exec_lo, s1
	s_branch .LBB22_135
	.p2align	6
.LBB22_132:                             ;   in Loop: Header=BB22_135 Depth=1
	s_or_b32 exec_lo, exec_lo, s1
	s_delay_alu instid0(VALU_DEP_1) | instskip(NEXT) | instid1(VALU_DEP_1)
	v_readfirstlane_b32 s1, v0
	s_cmp_eq_u32 s1, 0
	s_cbranch_scc1 .LBB22_134
; %bb.133:                              ;   in Loop: Header=BB22_135 Depth=1
	s_sleep 1
	s_cbranch_execnz .LBB22_135
	s_branch .LBB22_137
	.p2align	6
.LBB22_134:
	s_branch .LBB22_137
.LBB22_135:                             ; =>This Inner Loop Header: Depth=1
	v_mov_b32_e32 v0, 1
	s_and_saveexec_b32 s1, s0
	s_cbranch_execz .LBB22_132
; %bb.136:                              ;   in Loop: Header=BB22_135 Depth=1
	global_load_b32 v0, v[10:11], off offset:20 glc
	s_waitcnt vmcnt(0)
	buffer_gl1_inv
	buffer_gl0_inv
	v_and_b32_e32 v0, 1, v0
	s_branch .LBB22_132
.LBB22_137:
	global_load_b64 v[0:1], v[12:13], off
	s_and_saveexec_b32 s1, s0
	s_cbranch_execz .LBB22_141
; %bb.138:
	v_mov_b32_e32 v10, 0
	s_clause 0x2
	global_load_b64 v[2:3], v10, s[2:3] offset:40
	global_load_b64 v[11:12], v10, s[2:3] offset:24 glc
	global_load_b64 v[8:9], v10, s[2:3]
	s_waitcnt vmcnt(2)
	v_add_co_u32 v13, vcc_lo, v2, 1
	v_add_co_ci_u32_e32 v14, vcc_lo, 0, v3, vcc_lo
	s_delay_alu instid0(VALU_DEP_2) | instskip(NEXT) | instid1(VALU_DEP_2)
	v_add_co_u32 v6, vcc_lo, v13, s4
	v_add_co_ci_u32_e32 v7, vcc_lo, s5, v14, vcc_lo
	s_delay_alu instid0(VALU_DEP_1) | instskip(SKIP_1) | instid1(VALU_DEP_1)
	v_cmp_eq_u64_e32 vcc_lo, 0, v[6:7]
	v_dual_cndmask_b32 v7, v7, v14 :: v_dual_cndmask_b32 v6, v6, v13
	v_and_b32_e32 v3, v7, v3
	s_delay_alu instid0(VALU_DEP_2) | instskip(NEXT) | instid1(VALU_DEP_2)
	v_and_b32_e32 v2, v6, v2
	v_mul_lo_u32 v3, v3, 24
	s_delay_alu instid0(VALU_DEP_2) | instskip(SKIP_1) | instid1(VALU_DEP_2)
	v_mul_hi_u32 v13, v2, 24
	v_mul_lo_u32 v2, v2, 24
	v_add_nc_u32_e32 v3, v13, v3
	s_waitcnt vmcnt(0)
	s_delay_alu instid0(VALU_DEP_2) | instskip(SKIP_1) | instid1(VALU_DEP_3)
	v_add_co_u32 v2, vcc_lo, v8, v2
	v_mov_b32_e32 v8, v11
	v_add_co_ci_u32_e32 v3, vcc_lo, v9, v3, vcc_lo
	v_mov_b32_e32 v9, v12
	global_store_b64 v[2:3], v[11:12], off
	s_waitcnt_vscnt null, 0x0
	global_atomic_cmpswap_b64 v[8:9], v10, v[6:9], s[2:3] offset:24 glc
	s_waitcnt vmcnt(0)
	v_cmp_ne_u64_e32 vcc_lo, v[8:9], v[11:12]
	s_and_b32 exec_lo, exec_lo, vcc_lo
	s_cbranch_execz .LBB22_141
; %bb.139:
	s_mov_b32 s0, 0
.LBB22_140:                             ; =>This Inner Loop Header: Depth=1
	s_sleep 1
	global_store_b64 v[2:3], v[8:9], off
	s_waitcnt_vscnt null, 0x0
	global_atomic_cmpswap_b64 v[11:12], v10, v[6:9], s[2:3] offset:24 glc
	s_waitcnt vmcnt(0)
	v_cmp_eq_u64_e32 vcc_lo, v[11:12], v[8:9]
	v_dual_mov_b32 v8, v11 :: v_dual_mov_b32 v9, v12
	s_or_b32 s0, vcc_lo, s0
	s_delay_alu instid0(SALU_CYCLE_1)
	s_and_not1_b32 exec_lo, exec_lo, s0
	s_cbranch_execnz .LBB22_140
.LBB22_141:
	s_or_b32 exec_lo, exec_lo, s1
.LBB22_142:
	s_getpc_b64 s[4:5]
	s_add_u32 s4, s4, .str.2@rel32@lo+4
	s_addc_u32 s5, s5, .str.2@rel32@hi+12
	s_delay_alu instid0(SALU_CYCLE_1)
	s_cmp_lg_u64 s[4:5], 0
	s_cbranch_scc0 .LBB22_220
; %bb.143:
	s_getpc_b64 s[0:1]
	s_add_u32 s0, s0, .str.2@rel32@lo+81
	s_addc_u32 s1, s1, .str.2@rel32@hi+89
	s_waitcnt vmcnt(0)
	v_dual_mov_b32 v10, 0 :: v_dual_and_b32 v33, 2, v0
	v_dual_mov_b32 v7, v1 :: v_dual_and_b32 v6, -3, v0
	v_dual_mov_b32 v11, 2 :: v_dual_mov_b32 v12, 1
	s_sub_i32 s6, s0, s4
	s_delay_alu instid0(SALU_CYCLE_1)
	s_ashr_i32 s7, s6, 31
	s_branch .LBB22_145
.LBB22_144:                             ;   in Loop: Header=BB22_145 Depth=1
	s_or_b32 exec_lo, exec_lo, s1
	s_sub_u32 s6, s6, s10
	s_subb_u32 s7, s7, s11
	s_add_u32 s4, s4, s10
	s_addc_u32 s5, s5, s11
	s_cmp_lg_u64 s[6:7], 0
	s_cbranch_scc0 .LBB22_221
.LBB22_145:                             ; =>This Loop Header: Depth=1
                                        ;     Child Loop BB22_154 Depth 2
                                        ;     Child Loop BB22_150 Depth 2
	;; [unrolled: 1-line block ×11, first 2 shown]
	v_cmp_lt_u64_e64 s0, s[6:7], 56
	v_cmp_gt_u64_e64 s1, s[6:7], 7
                                        ; implicit-def: $vgpr15_vgpr16
                                        ; implicit-def: $sgpr16
	s_delay_alu instid0(VALU_DEP_2) | instskip(SKIP_2) | instid1(VALU_DEP_1)
	s_and_b32 s0, s0, exec_lo
	s_cselect_b32 s11, s7, 0
	s_cselect_b32 s10, s6, 56
	s_and_b32 vcc_lo, exec_lo, s1
	s_mov_b32 s0, -1
	s_cbranch_vccz .LBB22_152
; %bb.146:                              ;   in Loop: Header=BB22_145 Depth=1
	s_and_not1_b32 vcc_lo, exec_lo, s0
	s_mov_b64 s[0:1], s[4:5]
	s_cbranch_vccz .LBB22_156
.LBB22_147:                             ;   in Loop: Header=BB22_145 Depth=1
	s_cmp_gt_u32 s16, 7
	s_cbranch_scc1 .LBB22_157
.LBB22_148:                             ;   in Loop: Header=BB22_145 Depth=1
	v_mov_b32_e32 v17, 0
	v_mov_b32_e32 v18, 0
	s_cmp_eq_u32 s16, 0
	s_cbranch_scc1 .LBB22_151
; %bb.149:                              ;   in Loop: Header=BB22_145 Depth=1
	s_mov_b64 s[12:13], 0
	s_mov_b64 s[14:15], 0
.LBB22_150:                             ;   Parent Loop BB22_145 Depth=1
                                        ; =>  This Inner Loop Header: Depth=2
	s_delay_alu instid0(SALU_CYCLE_1)
	s_add_u32 s18, s0, s14
	s_addc_u32 s19, s1, s15
	s_add_u32 s14, s14, 1
	global_load_u8 v2, v10, s[18:19]
	s_addc_u32 s15, s15, 0
	s_waitcnt vmcnt(0)
	v_and_b32_e32 v9, 0xffff, v2
	s_delay_alu instid0(VALU_DEP_1) | instskip(SKIP_3) | instid1(VALU_DEP_1)
	v_lshlrev_b64 v[2:3], s12, v[9:10]
	s_add_u32 s12, s12, 8
	s_addc_u32 s13, s13, 0
	s_cmp_lg_u32 s16, s14
	v_or_b32_e32 v17, v2, v17
	s_delay_alu instid0(VALU_DEP_2)
	v_or_b32_e32 v18, v3, v18
	s_cbranch_scc1 .LBB22_150
.LBB22_151:                             ;   in Loop: Header=BB22_145 Depth=1
	s_mov_b32 s17, 0
	s_cbranch_execz .LBB22_158
	s_branch .LBB22_159
.LBB22_152:                             ;   in Loop: Header=BB22_145 Depth=1
	v_mov_b32_e32 v15, 0
	v_mov_b32_e32 v16, 0
	s_cmp_eq_u64 s[6:7], 0
	s_mov_b64 s[0:1], 0
	s_cbranch_scc1 .LBB22_155
; %bb.153:                              ;   in Loop: Header=BB22_145 Depth=1
	v_mov_b32_e32 v15, 0
	v_mov_b32_e32 v16, 0
	s_lshl_b64 s[12:13], s[10:11], 3
	s_mov_b64 s[14:15], s[4:5]
.LBB22_154:                             ;   Parent Loop BB22_145 Depth=1
                                        ; =>  This Inner Loop Header: Depth=2
	global_load_u8 v2, v10, s[14:15]
	s_waitcnt vmcnt(0)
	v_and_b32_e32 v9, 0xffff, v2
	s_delay_alu instid0(VALU_DEP_1)
	v_lshlrev_b64 v[2:3], s0, v[9:10]
	s_add_u32 s0, s0, 8
	s_addc_u32 s1, s1, 0
	s_add_u32 s14, s14, 1
	s_addc_u32 s15, s15, 0
	s_cmp_lg_u32 s12, s0
	v_or_b32_e32 v15, v2, v15
	v_or_b32_e32 v16, v3, v16
	s_cbranch_scc1 .LBB22_154
.LBB22_155:                             ;   in Loop: Header=BB22_145 Depth=1
	s_mov_b32 s16, 0
	s_mov_b64 s[0:1], s[4:5]
	s_cbranch_execnz .LBB22_147
.LBB22_156:                             ;   in Loop: Header=BB22_145 Depth=1
	global_load_b64 v[15:16], v10, s[4:5]
	s_add_i32 s16, s10, -8
	s_add_u32 s0, s4, 8
	s_addc_u32 s1, s5, 0
	s_cmp_gt_u32 s16, 7
	s_cbranch_scc0 .LBB22_148
.LBB22_157:                             ;   in Loop: Header=BB22_145 Depth=1
                                        ; implicit-def: $vgpr17_vgpr18
                                        ; implicit-def: $sgpr17
.LBB22_158:                             ;   in Loop: Header=BB22_145 Depth=1
	global_load_b64 v[17:18], v10, s[0:1]
	s_add_i32 s17, s16, -8
	s_add_u32 s0, s0, 8
	s_addc_u32 s1, s1, 0
.LBB22_159:                             ;   in Loop: Header=BB22_145 Depth=1
	s_cmp_gt_u32 s17, 7
	s_cbranch_scc1 .LBB22_164
; %bb.160:                              ;   in Loop: Header=BB22_145 Depth=1
	v_mov_b32_e32 v19, 0
	v_mov_b32_e32 v20, 0
	s_cmp_eq_u32 s17, 0
	s_cbranch_scc1 .LBB22_163
; %bb.161:                              ;   in Loop: Header=BB22_145 Depth=1
	s_mov_b64 s[12:13], 0
	s_mov_b64 s[14:15], 0
.LBB22_162:                             ;   Parent Loop BB22_145 Depth=1
                                        ; =>  This Inner Loop Header: Depth=2
	s_delay_alu instid0(SALU_CYCLE_1)
	s_add_u32 s18, s0, s14
	s_addc_u32 s19, s1, s15
	s_add_u32 s14, s14, 1
	global_load_u8 v2, v10, s[18:19]
	s_addc_u32 s15, s15, 0
	s_waitcnt vmcnt(0)
	v_and_b32_e32 v9, 0xffff, v2
	s_delay_alu instid0(VALU_DEP_1) | instskip(SKIP_3) | instid1(VALU_DEP_1)
	v_lshlrev_b64 v[2:3], s12, v[9:10]
	s_add_u32 s12, s12, 8
	s_addc_u32 s13, s13, 0
	s_cmp_lg_u32 s17, s14
	v_or_b32_e32 v19, v2, v19
	s_delay_alu instid0(VALU_DEP_2)
	v_or_b32_e32 v20, v3, v20
	s_cbranch_scc1 .LBB22_162
.LBB22_163:                             ;   in Loop: Header=BB22_145 Depth=1
	s_mov_b32 s16, 0
	s_cbranch_execz .LBB22_165
	s_branch .LBB22_166
.LBB22_164:                             ;   in Loop: Header=BB22_145 Depth=1
                                        ; implicit-def: $sgpr16
.LBB22_165:                             ;   in Loop: Header=BB22_145 Depth=1
	global_load_b64 v[19:20], v10, s[0:1]
	s_add_i32 s16, s17, -8
	s_add_u32 s0, s0, 8
	s_addc_u32 s1, s1, 0
.LBB22_166:                             ;   in Loop: Header=BB22_145 Depth=1
	s_cmp_gt_u32 s16, 7
	s_cbranch_scc1 .LBB22_171
; %bb.167:                              ;   in Loop: Header=BB22_145 Depth=1
	v_mov_b32_e32 v21, 0
	v_mov_b32_e32 v22, 0
	s_cmp_eq_u32 s16, 0
	s_cbranch_scc1 .LBB22_170
; %bb.168:                              ;   in Loop: Header=BB22_145 Depth=1
	s_mov_b64 s[12:13], 0
	s_mov_b64 s[14:15], 0
.LBB22_169:                             ;   Parent Loop BB22_145 Depth=1
                                        ; =>  This Inner Loop Header: Depth=2
	s_delay_alu instid0(SALU_CYCLE_1)
	s_add_u32 s18, s0, s14
	s_addc_u32 s19, s1, s15
	s_add_u32 s14, s14, 1
	global_load_u8 v2, v10, s[18:19]
	s_addc_u32 s15, s15, 0
	s_waitcnt vmcnt(0)
	v_and_b32_e32 v9, 0xffff, v2
	s_delay_alu instid0(VALU_DEP_1) | instskip(SKIP_3) | instid1(VALU_DEP_1)
	v_lshlrev_b64 v[2:3], s12, v[9:10]
	s_add_u32 s12, s12, 8
	s_addc_u32 s13, s13, 0
	s_cmp_lg_u32 s16, s14
	v_or_b32_e32 v21, v2, v21
	s_delay_alu instid0(VALU_DEP_2)
	v_or_b32_e32 v22, v3, v22
	s_cbranch_scc1 .LBB22_169
.LBB22_170:                             ;   in Loop: Header=BB22_145 Depth=1
	s_mov_b32 s17, 0
	s_cbranch_execz .LBB22_172
	s_branch .LBB22_173
.LBB22_171:                             ;   in Loop: Header=BB22_145 Depth=1
                                        ; implicit-def: $vgpr21_vgpr22
                                        ; implicit-def: $sgpr17
.LBB22_172:                             ;   in Loop: Header=BB22_145 Depth=1
	global_load_b64 v[21:22], v10, s[0:1]
	s_add_i32 s17, s16, -8
	s_add_u32 s0, s0, 8
	s_addc_u32 s1, s1, 0
.LBB22_173:                             ;   in Loop: Header=BB22_145 Depth=1
	s_cmp_gt_u32 s17, 7
	s_cbranch_scc1 .LBB22_178
; %bb.174:                              ;   in Loop: Header=BB22_145 Depth=1
	v_mov_b32_e32 v23, 0
	v_mov_b32_e32 v24, 0
	s_cmp_eq_u32 s17, 0
	s_cbranch_scc1 .LBB22_177
; %bb.175:                              ;   in Loop: Header=BB22_145 Depth=1
	s_mov_b64 s[12:13], 0
	s_mov_b64 s[14:15], 0
.LBB22_176:                             ;   Parent Loop BB22_145 Depth=1
                                        ; =>  This Inner Loop Header: Depth=2
	s_delay_alu instid0(SALU_CYCLE_1)
	s_add_u32 s18, s0, s14
	s_addc_u32 s19, s1, s15
	s_add_u32 s14, s14, 1
	global_load_u8 v2, v10, s[18:19]
	s_addc_u32 s15, s15, 0
	s_waitcnt vmcnt(0)
	v_and_b32_e32 v9, 0xffff, v2
	s_delay_alu instid0(VALU_DEP_1) | instskip(SKIP_3) | instid1(VALU_DEP_1)
	v_lshlrev_b64 v[2:3], s12, v[9:10]
	s_add_u32 s12, s12, 8
	s_addc_u32 s13, s13, 0
	s_cmp_lg_u32 s17, s14
	v_or_b32_e32 v23, v2, v23
	s_delay_alu instid0(VALU_DEP_2)
	v_or_b32_e32 v24, v3, v24
	s_cbranch_scc1 .LBB22_176
.LBB22_177:                             ;   in Loop: Header=BB22_145 Depth=1
	s_mov_b32 s16, 0
	s_cbranch_execz .LBB22_179
	s_branch .LBB22_180
.LBB22_178:                             ;   in Loop: Header=BB22_145 Depth=1
                                        ; implicit-def: $sgpr16
.LBB22_179:                             ;   in Loop: Header=BB22_145 Depth=1
	global_load_b64 v[23:24], v10, s[0:1]
	s_add_i32 s16, s17, -8
	s_add_u32 s0, s0, 8
	s_addc_u32 s1, s1, 0
.LBB22_180:                             ;   in Loop: Header=BB22_145 Depth=1
	s_cmp_gt_u32 s16, 7
	s_cbranch_scc1 .LBB22_185
; %bb.181:                              ;   in Loop: Header=BB22_145 Depth=1
	v_mov_b32_e32 v25, 0
	v_mov_b32_e32 v26, 0
	s_cmp_eq_u32 s16, 0
	s_cbranch_scc1 .LBB22_184
; %bb.182:                              ;   in Loop: Header=BB22_145 Depth=1
	s_mov_b64 s[12:13], 0
	s_mov_b64 s[14:15], 0
.LBB22_183:                             ;   Parent Loop BB22_145 Depth=1
                                        ; =>  This Inner Loop Header: Depth=2
	s_delay_alu instid0(SALU_CYCLE_1)
	s_add_u32 s18, s0, s14
	s_addc_u32 s19, s1, s15
	s_add_u32 s14, s14, 1
	global_load_u8 v2, v10, s[18:19]
	s_addc_u32 s15, s15, 0
	s_waitcnt vmcnt(0)
	v_and_b32_e32 v9, 0xffff, v2
	s_delay_alu instid0(VALU_DEP_1) | instskip(SKIP_3) | instid1(VALU_DEP_1)
	v_lshlrev_b64 v[2:3], s12, v[9:10]
	s_add_u32 s12, s12, 8
	s_addc_u32 s13, s13, 0
	s_cmp_lg_u32 s16, s14
	v_or_b32_e32 v25, v2, v25
	s_delay_alu instid0(VALU_DEP_2)
	v_or_b32_e32 v26, v3, v26
	s_cbranch_scc1 .LBB22_183
.LBB22_184:                             ;   in Loop: Header=BB22_145 Depth=1
	s_mov_b32 s17, 0
	s_cbranch_execz .LBB22_186
	s_branch .LBB22_187
.LBB22_185:                             ;   in Loop: Header=BB22_145 Depth=1
                                        ; implicit-def: $vgpr25_vgpr26
                                        ; implicit-def: $sgpr17
.LBB22_186:                             ;   in Loop: Header=BB22_145 Depth=1
	global_load_b64 v[25:26], v10, s[0:1]
	s_add_i32 s17, s16, -8
	s_add_u32 s0, s0, 8
	s_addc_u32 s1, s1, 0
.LBB22_187:                             ;   in Loop: Header=BB22_145 Depth=1
	s_cmp_gt_u32 s17, 7
	s_cbranch_scc1 .LBB22_192
; %bb.188:                              ;   in Loop: Header=BB22_145 Depth=1
	v_mov_b32_e32 v27, 0
	v_mov_b32_e32 v28, 0
	s_cmp_eq_u32 s17, 0
	s_cbranch_scc1 .LBB22_191
; %bb.189:                              ;   in Loop: Header=BB22_145 Depth=1
	s_mov_b64 s[12:13], 0
	s_mov_b64 s[14:15], s[0:1]
.LBB22_190:                             ;   Parent Loop BB22_145 Depth=1
                                        ; =>  This Inner Loop Header: Depth=2
	global_load_u8 v2, v10, s[14:15]
	s_add_i32 s17, s17, -1
	s_waitcnt vmcnt(0)
	v_and_b32_e32 v9, 0xffff, v2
	s_delay_alu instid0(VALU_DEP_1)
	v_lshlrev_b64 v[2:3], s12, v[9:10]
	s_add_u32 s12, s12, 8
	s_addc_u32 s13, s13, 0
	s_add_u32 s14, s14, 1
	s_addc_u32 s15, s15, 0
	s_cmp_lg_u32 s17, 0
	v_or_b32_e32 v27, v2, v27
	v_or_b32_e32 v28, v3, v28
	s_cbranch_scc1 .LBB22_190
.LBB22_191:                             ;   in Loop: Header=BB22_145 Depth=1
	s_cbranch_execz .LBB22_193
	s_branch .LBB22_194
.LBB22_192:                             ;   in Loop: Header=BB22_145 Depth=1
.LBB22_193:                             ;   in Loop: Header=BB22_145 Depth=1
	global_load_b64 v[27:28], v10, s[0:1]
.LBB22_194:                             ;   in Loop: Header=BB22_145 Depth=1
	v_readfirstlane_b32 s0, v35
	v_mov_b32_e32 v2, 0
	v_mov_b32_e32 v3, 0
	s_delay_alu instid0(VALU_DEP_3) | instskip(NEXT) | instid1(VALU_DEP_1)
	v_cmp_eq_u32_e64 s0, s0, v35
	s_and_saveexec_b32 s1, s0
	s_cbranch_execz .LBB22_200
; %bb.195:                              ;   in Loop: Header=BB22_145 Depth=1
	global_load_b64 v[31:32], v10, s[2:3] offset:24 glc
	s_waitcnt vmcnt(0)
	buffer_gl1_inv
	buffer_gl0_inv
	s_clause 0x1
	global_load_b64 v[2:3], v10, s[2:3] offset:40
	global_load_b64 v[8:9], v10, s[2:3]
	s_mov_b32 s12, exec_lo
	s_waitcnt vmcnt(1)
	v_and_b32_e32 v3, v3, v32
	v_and_b32_e32 v2, v2, v31
	s_delay_alu instid0(VALU_DEP_2) | instskip(NEXT) | instid1(VALU_DEP_2)
	v_mul_lo_u32 v3, v3, 24
	v_mul_hi_u32 v13, v2, 24
	v_mul_lo_u32 v2, v2, 24
	s_delay_alu instid0(VALU_DEP_2) | instskip(SKIP_1) | instid1(VALU_DEP_2)
	v_add_nc_u32_e32 v3, v13, v3
	s_waitcnt vmcnt(0)
	v_add_co_u32 v2, vcc_lo, v8, v2
	s_delay_alu instid0(VALU_DEP_2)
	v_add_co_ci_u32_e32 v3, vcc_lo, v9, v3, vcc_lo
	global_load_b64 v[29:30], v[2:3], off glc
	s_waitcnt vmcnt(0)
	global_atomic_cmpswap_b64 v[2:3], v10, v[29:32], s[2:3] offset:24 glc
	s_waitcnt vmcnt(0)
	buffer_gl1_inv
	buffer_gl0_inv
	v_cmpx_ne_u64_e64 v[2:3], v[31:32]
	s_cbranch_execz .LBB22_199
; %bb.196:                              ;   in Loop: Header=BB22_145 Depth=1
	s_mov_b32 s13, 0
	.p2align	6
.LBB22_197:                             ;   Parent Loop BB22_145 Depth=1
                                        ; =>  This Inner Loop Header: Depth=2
	s_sleep 1
	s_clause 0x1
	global_load_b64 v[8:9], v10, s[2:3] offset:40
	global_load_b64 v[13:14], v10, s[2:3]
	v_dual_mov_b32 v32, v3 :: v_dual_mov_b32 v31, v2
	s_waitcnt vmcnt(1)
	s_delay_alu instid0(VALU_DEP_1) | instskip(SKIP_1) | instid1(VALU_DEP_1)
	v_and_b32_e32 v8, v8, v31
	s_waitcnt vmcnt(0)
	v_mad_u64_u32 v[2:3], null, v8, 24, v[13:14]
	v_and_b32_e32 v13, v9, v32
	s_delay_alu instid0(VALU_DEP_1) | instskip(NEXT) | instid1(VALU_DEP_1)
	v_mad_u64_u32 v[8:9], null, v13, 24, v[3:4]
	v_mov_b32_e32 v3, v8
	global_load_b64 v[29:30], v[2:3], off glc
	s_waitcnt vmcnt(0)
	global_atomic_cmpswap_b64 v[2:3], v10, v[29:32], s[2:3] offset:24 glc
	s_waitcnt vmcnt(0)
	buffer_gl1_inv
	buffer_gl0_inv
	v_cmp_eq_u64_e32 vcc_lo, v[2:3], v[31:32]
	s_or_b32 s13, vcc_lo, s13
	s_delay_alu instid0(SALU_CYCLE_1)
	s_and_not1_b32 exec_lo, exec_lo, s13
	s_cbranch_execnz .LBB22_197
; %bb.198:                              ;   in Loop: Header=BB22_145 Depth=1
	s_or_b32 exec_lo, exec_lo, s13
.LBB22_199:                             ;   in Loop: Header=BB22_145 Depth=1
	s_delay_alu instid0(SALU_CYCLE_1)
	s_or_b32 exec_lo, exec_lo, s12
.LBB22_200:                             ;   in Loop: Header=BB22_145 Depth=1
	s_delay_alu instid0(SALU_CYCLE_1)
	s_or_b32 exec_lo, exec_lo, s1
	s_clause 0x1
	global_load_b64 v[8:9], v10, s[2:3] offset:40
	global_load_b128 v[29:32], v10, s[2:3]
	v_readfirstlane_b32 s12, v2
	v_readfirstlane_b32 s13, v3
	s_mov_b32 s1, exec_lo
	s_waitcnt vmcnt(1)
	v_readfirstlane_b32 s14, v8
	v_readfirstlane_b32 s15, v9
	s_delay_alu instid0(VALU_DEP_1) | instskip(NEXT) | instid1(SALU_CYCLE_1)
	s_and_b64 s[14:15], s[12:13], s[14:15]
	s_mul_i32 s16, s15, 24
	s_mul_hi_u32 s17, s14, 24
	s_mul_i32 s18, s14, 24
	s_add_i32 s17, s17, s16
	s_waitcnt vmcnt(0)
	v_add_co_u32 v2, vcc_lo, v29, s18
	v_add_co_ci_u32_e32 v3, vcc_lo, s17, v30, vcc_lo
	s_and_saveexec_b32 s16, s0
	s_cbranch_execz .LBB22_202
; %bb.201:                              ;   in Loop: Header=BB22_145 Depth=1
	v_mov_b32_e32 v9, s1
	global_store_b128 v[2:3], v[9:12], off offset:8
.LBB22_202:                             ;   in Loop: Header=BB22_145 Depth=1
	s_or_b32 exec_lo, exec_lo, s16
	s_lshl_b64 s[14:15], s[14:15], 12
	v_cmp_gt_u64_e64 vcc_lo, s[6:7], 56
	v_or_b32_e32 v9, v6, v33
	v_add_co_u32 v31, s1, v31, s14
	s_delay_alu instid0(VALU_DEP_1)
	v_add_co_ci_u32_e64 v32, s1, s15, v32, s1
	s_lshl_b32 s1, s10, 2
	v_or_b32_e32 v8, 0, v7
	v_cndmask_b32_e32 v6, v9, v6, vcc_lo
	s_add_i32 s1, s1, 28
	v_readfirstlane_b32 s14, v31
	s_and_b32 s1, s1, 0x1e0
	v_cndmask_b32_e32 v14, v8, v7, vcc_lo
	v_readfirstlane_b32 s15, v32
	v_and_or_b32 v13, 0xffffff1f, v6, s1
	s_clause 0x3
	global_store_b128 v34, v[13:16], s[14:15]
	global_store_b128 v34, v[17:20], s[14:15] offset:16
	global_store_b128 v34, v[21:24], s[14:15] offset:32
	;; [unrolled: 1-line block ×3, first 2 shown]
	s_and_saveexec_b32 s1, s0
	s_cbranch_execz .LBB22_210
; %bb.203:                              ;   in Loop: Header=BB22_145 Depth=1
	s_clause 0x1
	global_load_b64 v[17:18], v10, s[2:3] offset:32 glc
	global_load_b64 v[6:7], v10, s[2:3] offset:40
	v_dual_mov_b32 v15, s12 :: v_dual_mov_b32 v16, s13
	s_waitcnt vmcnt(0)
	v_readfirstlane_b32 s14, v6
	v_readfirstlane_b32 s15, v7
	s_delay_alu instid0(VALU_DEP_1) | instskip(NEXT) | instid1(SALU_CYCLE_1)
	s_and_b64 s[14:15], s[14:15], s[12:13]
	s_mul_i32 s15, s15, 24
	s_mul_hi_u32 s16, s14, 24
	s_mul_i32 s14, s14, 24
	s_add_i32 s16, s16, s15
	v_add_co_u32 v13, vcc_lo, v29, s14
	v_add_co_ci_u32_e32 v14, vcc_lo, s16, v30, vcc_lo
	s_mov_b32 s14, exec_lo
	global_store_b64 v[13:14], v[17:18], off
	s_waitcnt_vscnt null, 0x0
	global_atomic_cmpswap_b64 v[8:9], v10, v[15:18], s[2:3] offset:32 glc
	s_waitcnt vmcnt(0)
	v_cmpx_ne_u64_e64 v[8:9], v[17:18]
	s_cbranch_execz .LBB22_206
; %bb.204:                              ;   in Loop: Header=BB22_145 Depth=1
	s_mov_b32 s15, 0
.LBB22_205:                             ;   Parent Loop BB22_145 Depth=1
                                        ; =>  This Inner Loop Header: Depth=2
	v_dual_mov_b32 v6, s12 :: v_dual_mov_b32 v7, s13
	s_sleep 1
	global_store_b64 v[13:14], v[8:9], off
	s_waitcnt_vscnt null, 0x0
	global_atomic_cmpswap_b64 v[6:7], v10, v[6:9], s[2:3] offset:32 glc
	s_waitcnt vmcnt(0)
	v_cmp_eq_u64_e32 vcc_lo, v[6:7], v[8:9]
	v_dual_mov_b32 v9, v7 :: v_dual_mov_b32 v8, v6
	s_or_b32 s15, vcc_lo, s15
	s_delay_alu instid0(SALU_CYCLE_1)
	s_and_not1_b32 exec_lo, exec_lo, s15
	s_cbranch_execnz .LBB22_205
.LBB22_206:                             ;   in Loop: Header=BB22_145 Depth=1
	s_or_b32 exec_lo, exec_lo, s14
	global_load_b64 v[6:7], v10, s[2:3] offset:16
	s_mov_b32 s15, exec_lo
	s_mov_b32 s14, exec_lo
	v_mbcnt_lo_u32_b32 v8, s15, 0
	s_delay_alu instid0(VALU_DEP_1)
	v_cmpx_eq_u32_e32 0, v8
	s_cbranch_execz .LBB22_208
; %bb.207:                              ;   in Loop: Header=BB22_145 Depth=1
	s_bcnt1_i32_b32 s15, s15
	s_delay_alu instid0(SALU_CYCLE_1)
	v_mov_b32_e32 v9, s15
	s_waitcnt vmcnt(0)
	global_atomic_add_u64 v[6:7], v[9:10], off offset:8
.LBB22_208:                             ;   in Loop: Header=BB22_145 Depth=1
	s_or_b32 exec_lo, exec_lo, s14
	s_waitcnt vmcnt(0)
	global_load_b64 v[13:14], v[6:7], off offset:16
	s_waitcnt vmcnt(0)
	v_cmp_eq_u64_e32 vcc_lo, 0, v[13:14]
	s_cbranch_vccnz .LBB22_210
; %bb.209:                              ;   in Loop: Header=BB22_145 Depth=1
	global_load_b32 v9, v[6:7], off offset:24
	s_waitcnt vmcnt(0)
	v_and_b32_e32 v6, 0xffffff, v9
	s_waitcnt_vscnt null, 0x0
	global_store_b64 v[13:14], v[9:10], off
	v_readfirstlane_b32 m0, v6
	s_sendmsg sendmsg(MSG_INTERRUPT)
.LBB22_210:                             ;   in Loop: Header=BB22_145 Depth=1
	s_or_b32 exec_lo, exec_lo, s1
	v_add_co_u32 v6, vcc_lo, v31, v34
	v_add_co_ci_u32_e32 v7, vcc_lo, 0, v32, vcc_lo
	s_branch .LBB22_214
	.p2align	6
.LBB22_211:                             ;   in Loop: Header=BB22_214 Depth=2
	s_or_b32 exec_lo, exec_lo, s1
	s_delay_alu instid0(VALU_DEP_1) | instskip(NEXT) | instid1(VALU_DEP_1)
	v_readfirstlane_b32 s1, v8
	s_cmp_eq_u32 s1, 0
	s_cbranch_scc1 .LBB22_213
; %bb.212:                              ;   in Loop: Header=BB22_214 Depth=2
	s_sleep 1
	s_cbranch_execnz .LBB22_214
	s_branch .LBB22_216
	.p2align	6
.LBB22_213:                             ;   in Loop: Header=BB22_145 Depth=1
	s_branch .LBB22_216
.LBB22_214:                             ;   Parent Loop BB22_145 Depth=1
                                        ; =>  This Inner Loop Header: Depth=2
	v_mov_b32_e32 v8, 1
	s_and_saveexec_b32 s1, s0
	s_cbranch_execz .LBB22_211
; %bb.215:                              ;   in Loop: Header=BB22_214 Depth=2
	global_load_b32 v8, v[2:3], off offset:20 glc
	s_waitcnt vmcnt(0)
	buffer_gl1_inv
	buffer_gl0_inv
	v_and_b32_e32 v8, 1, v8
	s_branch .LBB22_211
.LBB22_216:                             ;   in Loop: Header=BB22_145 Depth=1
	global_load_b128 v[6:9], v[6:7], off
	s_and_saveexec_b32 s1, s0
	s_cbranch_execz .LBB22_144
; %bb.217:                              ;   in Loop: Header=BB22_145 Depth=1
	s_clause 0x2
	global_load_b64 v[2:3], v10, s[2:3] offset:40
	global_load_b64 v[8:9], v10, s[2:3] offset:24 glc
	global_load_b64 v[15:16], v10, s[2:3]
	s_waitcnt vmcnt(2)
	v_add_co_u32 v17, vcc_lo, v2, 1
	v_add_co_ci_u32_e32 v18, vcc_lo, 0, v3, vcc_lo
	s_delay_alu instid0(VALU_DEP_2) | instskip(NEXT) | instid1(VALU_DEP_2)
	v_add_co_u32 v13, vcc_lo, v17, s12
	v_add_co_ci_u32_e32 v14, vcc_lo, s13, v18, vcc_lo
	s_delay_alu instid0(VALU_DEP_1) | instskip(SKIP_1) | instid1(VALU_DEP_1)
	v_cmp_eq_u64_e32 vcc_lo, 0, v[13:14]
	v_dual_cndmask_b32 v14, v14, v18 :: v_dual_cndmask_b32 v13, v13, v17
	v_and_b32_e32 v3, v14, v3
	s_delay_alu instid0(VALU_DEP_2) | instskip(NEXT) | instid1(VALU_DEP_2)
	v_and_b32_e32 v2, v13, v2
	v_mul_lo_u32 v3, v3, 24
	s_delay_alu instid0(VALU_DEP_2) | instskip(SKIP_1) | instid1(VALU_DEP_2)
	v_mul_hi_u32 v17, v2, 24
	v_mul_lo_u32 v2, v2, 24
	v_add_nc_u32_e32 v3, v17, v3
	s_waitcnt vmcnt(0)
	s_delay_alu instid0(VALU_DEP_2) | instskip(SKIP_1) | instid1(VALU_DEP_3)
	v_add_co_u32 v2, vcc_lo, v15, v2
	v_mov_b32_e32 v15, v8
	v_add_co_ci_u32_e32 v3, vcc_lo, v16, v3, vcc_lo
	v_mov_b32_e32 v16, v9
	global_store_b64 v[2:3], v[8:9], off
	s_waitcnt_vscnt null, 0x0
	global_atomic_cmpswap_b64 v[15:16], v10, v[13:16], s[2:3] offset:24 glc
	s_waitcnt vmcnt(0)
	v_cmp_ne_u64_e32 vcc_lo, v[15:16], v[8:9]
	s_and_b32 exec_lo, exec_lo, vcc_lo
	s_cbranch_execz .LBB22_144
; %bb.218:                              ;   in Loop: Header=BB22_145 Depth=1
	s_mov_b32 s0, 0
.LBB22_219:                             ;   Parent Loop BB22_145 Depth=1
                                        ; =>  This Inner Loop Header: Depth=2
	s_sleep 1
	global_store_b64 v[2:3], v[15:16], off
	s_waitcnt_vscnt null, 0x0
	global_atomic_cmpswap_b64 v[8:9], v10, v[13:16], s[2:3] offset:24 glc
	s_waitcnt vmcnt(0)
	v_cmp_eq_u64_e32 vcc_lo, v[8:9], v[15:16]
	v_dual_mov_b32 v16, v9 :: v_dual_mov_b32 v15, v8
	s_or_b32 s0, vcc_lo, s0
	s_delay_alu instid0(SALU_CYCLE_1)
	s_and_not1_b32 exec_lo, exec_lo, s0
	s_cbranch_execnz .LBB22_219
	s_branch .LBB22_144
.LBB22_220:
                                        ; implicit-def: $vgpr6_vgpr7
	s_cbranch_execnz .LBB22_222
	s_branch .LBB22_249
.LBB22_221:
	s_branch .LBB22_249
.LBB22_222:
	v_readfirstlane_b32 s0, v35
	v_mov_b32_e32 v10, 0
	v_mov_b32_e32 v11, 0
	s_delay_alu instid0(VALU_DEP_3) | instskip(NEXT) | instid1(VALU_DEP_1)
	v_cmp_eq_u32_e64 s0, s0, v35
	s_and_saveexec_b32 s1, s0
	s_cbranch_execz .LBB22_228
; %bb.223:
	s_waitcnt vmcnt(0)
	v_mov_b32_e32 v2, 0
	s_mov_b32 s4, exec_lo
	global_load_b64 v[8:9], v2, s[2:3] offset:24 glc
	s_waitcnt vmcnt(0)
	buffer_gl1_inv
	buffer_gl0_inv
	s_clause 0x1
	global_load_b64 v[6:7], v2, s[2:3] offset:40
	global_load_b64 v[10:11], v2, s[2:3]
	s_waitcnt vmcnt(1)
	v_and_b32_e32 v3, v7, v9
	v_and_b32_e32 v6, v6, v8
	s_delay_alu instid0(VALU_DEP_2) | instskip(NEXT) | instid1(VALU_DEP_2)
	v_mul_lo_u32 v3, v3, 24
	v_mul_hi_u32 v7, v6, 24
	v_mul_lo_u32 v6, v6, 24
	s_delay_alu instid0(VALU_DEP_2) | instskip(SKIP_1) | instid1(VALU_DEP_2)
	v_add_nc_u32_e32 v3, v7, v3
	s_waitcnt vmcnt(0)
	v_add_co_u32 v6, vcc_lo, v10, v6
	s_delay_alu instid0(VALU_DEP_2)
	v_add_co_ci_u32_e32 v7, vcc_lo, v11, v3, vcc_lo
	global_load_b64 v[6:7], v[6:7], off glc
	s_waitcnt vmcnt(0)
	global_atomic_cmpswap_b64 v[10:11], v2, v[6:9], s[2:3] offset:24 glc
	s_waitcnt vmcnt(0)
	buffer_gl1_inv
	buffer_gl0_inv
	v_cmpx_ne_u64_e64 v[10:11], v[8:9]
	s_cbranch_execz .LBB22_227
; %bb.224:
	s_mov_b32 s5, 0
	.p2align	6
.LBB22_225:                             ; =>This Inner Loop Header: Depth=1
	s_sleep 1
	s_clause 0x1
	global_load_b64 v[6:7], v2, s[2:3] offset:40
	global_load_b64 v[12:13], v2, s[2:3]
	v_dual_mov_b32 v8, v10 :: v_dual_mov_b32 v9, v11
	s_waitcnt vmcnt(1)
	s_delay_alu instid0(VALU_DEP_1) | instskip(SKIP_1) | instid1(VALU_DEP_1)
	v_and_b32_e32 v3, v6, v8
	s_waitcnt vmcnt(0)
	v_mad_u64_u32 v[10:11], null, v3, 24, v[12:13]
	v_and_b32_e32 v12, v7, v9
	s_delay_alu instid0(VALU_DEP_2) | instskip(NEXT) | instid1(VALU_DEP_1)
	v_mov_b32_e32 v3, v11
	v_mad_u64_u32 v[6:7], null, v12, 24, v[3:4]
	s_delay_alu instid0(VALU_DEP_1)
	v_mov_b32_e32 v11, v6
	global_load_b64 v[6:7], v[10:11], off glc
	s_waitcnt vmcnt(0)
	global_atomic_cmpswap_b64 v[10:11], v2, v[6:9], s[2:3] offset:24 glc
	s_waitcnt vmcnt(0)
	buffer_gl1_inv
	buffer_gl0_inv
	v_cmp_eq_u64_e32 vcc_lo, v[10:11], v[8:9]
	s_or_b32 s5, vcc_lo, s5
	s_delay_alu instid0(SALU_CYCLE_1)
	s_and_not1_b32 exec_lo, exec_lo, s5
	s_cbranch_execnz .LBB22_225
; %bb.226:
	s_or_b32 exec_lo, exec_lo, s5
.LBB22_227:
	s_delay_alu instid0(SALU_CYCLE_1)
	s_or_b32 exec_lo, exec_lo, s4
.LBB22_228:
	s_delay_alu instid0(SALU_CYCLE_1)
	s_or_b32 exec_lo, exec_lo, s1
	s_waitcnt vmcnt(0)
	v_mov_b32_e32 v2, 0
	v_readfirstlane_b32 s4, v10
	v_readfirstlane_b32 s5, v11
	s_mov_b32 s1, exec_lo
	s_clause 0x1
	global_load_b64 v[12:13], v2, s[2:3] offset:40
	global_load_b128 v[6:9], v2, s[2:3]
	s_waitcnt vmcnt(1)
	v_readfirstlane_b32 s6, v12
	v_readfirstlane_b32 s7, v13
	s_delay_alu instid0(VALU_DEP_1) | instskip(NEXT) | instid1(SALU_CYCLE_1)
	s_and_b64 s[6:7], s[4:5], s[6:7]
	s_mul_i32 s10, s7, 24
	s_mul_hi_u32 s11, s6, 24
	s_mul_i32 s12, s6, 24
	s_add_i32 s11, s11, s10
	s_waitcnt vmcnt(0)
	v_add_co_u32 v10, vcc_lo, v6, s12
	v_add_co_ci_u32_e32 v11, vcc_lo, s11, v7, vcc_lo
	s_and_saveexec_b32 s10, s0
	s_cbranch_execz .LBB22_230
; %bb.229:
	v_dual_mov_b32 v12, s1 :: v_dual_mov_b32 v13, v2
	v_dual_mov_b32 v14, 2 :: v_dual_mov_b32 v15, 1
	global_store_b128 v[10:11], v[12:15], off offset:8
.LBB22_230:
	s_or_b32 exec_lo, exec_lo, s10
	s_lshl_b64 s[6:7], s[6:7], 12
	s_mov_b32 s12, 0
	v_add_co_u32 v8, vcc_lo, v8, s6
	v_add_co_ci_u32_e32 v9, vcc_lo, s7, v9, vcc_lo
	s_mov_b32 s13, s12
	s_delay_alu instid0(VALU_DEP_2)
	v_readfirstlane_b32 s6, v8
	v_add_co_u32 v8, vcc_lo, v8, v34
	s_mov_b32 s14, s12
	s_mov_b32 s15, s12
	v_and_or_b32 v0, 0xffffff1f, v0, 32
	v_dual_mov_b32 v3, v2 :: v_dual_mov_b32 v12, s12
	v_readfirstlane_b32 s7, v9
	v_add_co_ci_u32_e32 v9, vcc_lo, 0, v9, vcc_lo
	v_dual_mov_b32 v13, s13 :: v_dual_mov_b32 v14, s14
	v_mov_b32_e32 v15, s15
	s_clause 0x3
	global_store_b128 v34, v[0:3], s[6:7]
	global_store_b128 v34, v[12:15], s[6:7] offset:16
	global_store_b128 v34, v[12:15], s[6:7] offset:32
	;; [unrolled: 1-line block ×3, first 2 shown]
	s_and_saveexec_b32 s1, s0
	s_cbranch_execz .LBB22_238
; %bb.231:
	v_dual_mov_b32 v12, 0 :: v_dual_mov_b32 v13, s4
	v_mov_b32_e32 v14, s5
	s_clause 0x1
	global_load_b64 v[15:16], v12, s[2:3] offset:32 glc
	global_load_b64 v[0:1], v12, s[2:3] offset:40
	s_waitcnt vmcnt(0)
	v_readfirstlane_b32 s6, v0
	v_readfirstlane_b32 s7, v1
	s_delay_alu instid0(VALU_DEP_1) | instskip(NEXT) | instid1(SALU_CYCLE_1)
	s_and_b64 s[6:7], s[6:7], s[4:5]
	s_mul_i32 s7, s7, 24
	s_mul_hi_u32 s10, s6, 24
	s_mul_i32 s6, s6, 24
	s_add_i32 s10, s10, s7
	v_add_co_u32 v6, vcc_lo, v6, s6
	v_add_co_ci_u32_e32 v7, vcc_lo, s10, v7, vcc_lo
	s_mov_b32 s6, exec_lo
	global_store_b64 v[6:7], v[15:16], off
	s_waitcnt_vscnt null, 0x0
	global_atomic_cmpswap_b64 v[2:3], v12, v[13:16], s[2:3] offset:32 glc
	s_waitcnt vmcnt(0)
	v_cmpx_ne_u64_e64 v[2:3], v[15:16]
	s_cbranch_execz .LBB22_234
; %bb.232:
	s_mov_b32 s7, 0
.LBB22_233:                             ; =>This Inner Loop Header: Depth=1
	v_dual_mov_b32 v0, s4 :: v_dual_mov_b32 v1, s5
	s_sleep 1
	global_store_b64 v[6:7], v[2:3], off
	s_waitcnt_vscnt null, 0x0
	global_atomic_cmpswap_b64 v[0:1], v12, v[0:3], s[2:3] offset:32 glc
	s_waitcnt vmcnt(0)
	v_cmp_eq_u64_e32 vcc_lo, v[0:1], v[2:3]
	v_dual_mov_b32 v3, v1 :: v_dual_mov_b32 v2, v0
	s_or_b32 s7, vcc_lo, s7
	s_delay_alu instid0(SALU_CYCLE_1)
	s_and_not1_b32 exec_lo, exec_lo, s7
	s_cbranch_execnz .LBB22_233
.LBB22_234:
	s_or_b32 exec_lo, exec_lo, s6
	v_mov_b32_e32 v3, 0
	s_mov_b32 s7, exec_lo
	s_mov_b32 s6, exec_lo
	v_mbcnt_lo_u32_b32 v2, s7, 0
	global_load_b64 v[0:1], v3, s[2:3] offset:16
	v_cmpx_eq_u32_e32 0, v2
	s_cbranch_execz .LBB22_236
; %bb.235:
	s_bcnt1_i32_b32 s7, s7
	s_delay_alu instid0(SALU_CYCLE_1)
	v_mov_b32_e32 v2, s7
	s_waitcnt vmcnt(0)
	global_atomic_add_u64 v[0:1], v[2:3], off offset:8
.LBB22_236:
	s_or_b32 exec_lo, exec_lo, s6
	s_waitcnt vmcnt(0)
	global_load_b64 v[2:3], v[0:1], off offset:16
	s_waitcnt vmcnt(0)
	v_cmp_eq_u64_e32 vcc_lo, 0, v[2:3]
	s_cbranch_vccnz .LBB22_238
; %bb.237:
	global_load_b32 v0, v[0:1], off offset:24
	s_waitcnt vmcnt(0)
	v_dual_mov_b32 v1, 0 :: v_dual_and_b32 v6, 0xffffff, v0
	s_waitcnt_vscnt null, 0x0
	global_store_b64 v[2:3], v[0:1], off
	v_readfirstlane_b32 m0, v6
	s_sendmsg sendmsg(MSG_INTERRUPT)
.LBB22_238:
	s_or_b32 exec_lo, exec_lo, s1
	s_branch .LBB22_242
	.p2align	6
.LBB22_239:                             ;   in Loop: Header=BB22_242 Depth=1
	s_or_b32 exec_lo, exec_lo, s1
	s_delay_alu instid0(VALU_DEP_1) | instskip(NEXT) | instid1(VALU_DEP_1)
	v_readfirstlane_b32 s1, v0
	s_cmp_eq_u32 s1, 0
	s_cbranch_scc1 .LBB22_241
; %bb.240:                              ;   in Loop: Header=BB22_242 Depth=1
	s_sleep 1
	s_cbranch_execnz .LBB22_242
	s_branch .LBB22_244
	.p2align	6
.LBB22_241:
	s_branch .LBB22_244
.LBB22_242:                             ; =>This Inner Loop Header: Depth=1
	v_mov_b32_e32 v0, 1
	s_and_saveexec_b32 s1, s0
	s_cbranch_execz .LBB22_239
; %bb.243:                              ;   in Loop: Header=BB22_242 Depth=1
	global_load_b32 v0, v[10:11], off offset:20 glc
	s_waitcnt vmcnt(0)
	buffer_gl1_inv
	buffer_gl0_inv
	v_and_b32_e32 v0, 1, v0
	s_branch .LBB22_239
.LBB22_244:
	global_load_b64 v[6:7], v[8:9], off
	s_and_saveexec_b32 s1, s0
	s_cbranch_execz .LBB22_248
; %bb.245:
	v_mov_b32_e32 v10, 0
	s_clause 0x2
	global_load_b64 v[2:3], v10, s[2:3] offset:40
	global_load_b64 v[11:12], v10, s[2:3] offset:24 glc
	global_load_b64 v[8:9], v10, s[2:3]
	s_waitcnt vmcnt(2)
	v_add_co_u32 v13, vcc_lo, v2, 1
	v_add_co_ci_u32_e32 v14, vcc_lo, 0, v3, vcc_lo
	s_delay_alu instid0(VALU_DEP_2) | instskip(NEXT) | instid1(VALU_DEP_2)
	v_add_co_u32 v0, vcc_lo, v13, s4
	v_add_co_ci_u32_e32 v1, vcc_lo, s5, v14, vcc_lo
	s_delay_alu instid0(VALU_DEP_1) | instskip(SKIP_1) | instid1(VALU_DEP_1)
	v_cmp_eq_u64_e32 vcc_lo, 0, v[0:1]
	v_dual_cndmask_b32 v1, v1, v14 :: v_dual_cndmask_b32 v0, v0, v13
	v_and_b32_e32 v3, v1, v3
	s_delay_alu instid0(VALU_DEP_2) | instskip(NEXT) | instid1(VALU_DEP_2)
	v_and_b32_e32 v2, v0, v2
	v_mul_lo_u32 v3, v3, 24
	s_delay_alu instid0(VALU_DEP_2) | instskip(SKIP_1) | instid1(VALU_DEP_2)
	v_mul_hi_u32 v13, v2, 24
	v_mul_lo_u32 v2, v2, 24
	v_add_nc_u32_e32 v3, v13, v3
	s_waitcnt vmcnt(0)
	s_delay_alu instid0(VALU_DEP_2) | instskip(SKIP_1) | instid1(VALU_DEP_3)
	v_add_co_u32 v8, vcc_lo, v8, v2
	v_mov_b32_e32 v2, v11
	v_add_co_ci_u32_e32 v9, vcc_lo, v9, v3, vcc_lo
	v_mov_b32_e32 v3, v12
	global_store_b64 v[8:9], v[11:12], off
	s_waitcnt_vscnt null, 0x0
	global_atomic_cmpswap_b64 v[2:3], v10, v[0:3], s[2:3] offset:24 glc
	s_waitcnt vmcnt(0)
	v_cmp_ne_u64_e32 vcc_lo, v[2:3], v[11:12]
	s_and_b32 exec_lo, exec_lo, vcc_lo
	s_cbranch_execz .LBB22_248
; %bb.246:
	s_mov_b32 s0, 0
.LBB22_247:                             ; =>This Inner Loop Header: Depth=1
	s_sleep 1
	global_store_b64 v[8:9], v[2:3], off
	s_waitcnt_vscnt null, 0x0
	global_atomic_cmpswap_b64 v[11:12], v10, v[0:3], s[2:3] offset:24 glc
	s_waitcnt vmcnt(0)
	v_cmp_eq_u64_e32 vcc_lo, v[11:12], v[2:3]
	v_dual_mov_b32 v2, v11 :: v_dual_mov_b32 v3, v12
	s_or_b32 s0, vcc_lo, s0
	s_delay_alu instid0(SALU_CYCLE_1)
	s_and_not1_b32 exec_lo, exec_lo, s0
	s_cbranch_execnz .LBB22_247
.LBB22_248:
	s_or_b32 exec_lo, exec_lo, s1
.LBB22_249:
	v_readfirstlane_b32 s0, v35
	v_mov_b32_e32 v10, 0
	v_mov_b32_e32 v11, 0
	s_delay_alu instid0(VALU_DEP_3) | instskip(NEXT) | instid1(VALU_DEP_1)
	v_cmp_eq_u32_e64 s0, s0, v35
	s_and_saveexec_b32 s1, s0
	s_cbranch_execz .LBB22_255
; %bb.250:
	s_waitcnt vmcnt(0)
	v_mov_b32_e32 v0, 0
	s_mov_b32 s4, exec_lo
	global_load_b64 v[12:13], v0, s[2:3] offset:24 glc
	s_waitcnt vmcnt(0)
	buffer_gl1_inv
	buffer_gl0_inv
	s_clause 0x1
	global_load_b64 v[1:2], v0, s[2:3] offset:40
	global_load_b64 v[8:9], v0, s[2:3]
	s_waitcnt vmcnt(1)
	v_and_b32_e32 v1, v1, v12
	v_and_b32_e32 v2, v2, v13
	s_delay_alu instid0(VALU_DEP_2) | instskip(NEXT) | instid1(VALU_DEP_2)
	v_mul_hi_u32 v3, v1, 24
	v_mul_lo_u32 v2, v2, 24
	v_mul_lo_u32 v1, v1, 24
	s_delay_alu instid0(VALU_DEP_2) | instskip(SKIP_1) | instid1(VALU_DEP_2)
	v_add_nc_u32_e32 v2, v3, v2
	s_waitcnt vmcnt(0)
	v_add_co_u32 v1, vcc_lo, v8, v1
	s_delay_alu instid0(VALU_DEP_2)
	v_add_co_ci_u32_e32 v2, vcc_lo, v9, v2, vcc_lo
	global_load_b64 v[10:11], v[1:2], off glc
	s_waitcnt vmcnt(0)
	global_atomic_cmpswap_b64 v[10:11], v0, v[10:13], s[2:3] offset:24 glc
	s_waitcnt vmcnt(0)
	buffer_gl1_inv
	buffer_gl0_inv
	v_cmpx_ne_u64_e64 v[10:11], v[12:13]
	s_cbranch_execz .LBB22_254
; %bb.251:
	s_mov_b32 s5, 0
	.p2align	6
.LBB22_252:                             ; =>This Inner Loop Header: Depth=1
	s_sleep 1
	s_clause 0x1
	global_load_b64 v[1:2], v0, s[2:3] offset:40
	global_load_b64 v[8:9], v0, s[2:3]
	v_dual_mov_b32 v13, v11 :: v_dual_mov_b32 v12, v10
	s_waitcnt vmcnt(1)
	s_delay_alu instid0(VALU_DEP_1) | instskip(SKIP_1) | instid1(VALU_DEP_1)
	v_and_b32_e32 v1, v1, v12
	s_waitcnt vmcnt(0)
	v_mad_u64_u32 v[10:11], null, v1, 24, v[8:9]
	s_delay_alu instid0(VALU_DEP_1) | instskip(NEXT) | instid1(VALU_DEP_1)
	v_dual_mov_b32 v1, v11 :: v_dual_and_b32 v8, v2, v13
	v_mad_u64_u32 v[2:3], null, v8, 24, v[1:2]
	s_delay_alu instid0(VALU_DEP_1)
	v_mov_b32_e32 v11, v2
	global_load_b64 v[10:11], v[10:11], off glc
	s_waitcnt vmcnt(0)
	global_atomic_cmpswap_b64 v[10:11], v0, v[10:13], s[2:3] offset:24 glc
	s_waitcnt vmcnt(0)
	buffer_gl1_inv
	buffer_gl0_inv
	v_cmp_eq_u64_e32 vcc_lo, v[10:11], v[12:13]
	s_or_b32 s5, vcc_lo, s5
	s_delay_alu instid0(SALU_CYCLE_1)
	s_and_not1_b32 exec_lo, exec_lo, s5
	s_cbranch_execnz .LBB22_252
; %bb.253:
	s_or_b32 exec_lo, exec_lo, s5
.LBB22_254:
	s_delay_alu instid0(SALU_CYCLE_1)
	s_or_b32 exec_lo, exec_lo, s4
.LBB22_255:
	s_delay_alu instid0(SALU_CYCLE_1)
	s_or_b32 exec_lo, exec_lo, s1
	s_waitcnt vmcnt(0)
	v_mov_b32_e32 v9, 0
	v_readfirstlane_b32 s4, v10
	v_readfirstlane_b32 s5, v11
	s_mov_b32 s1, exec_lo
	s_clause 0x1
	global_load_b64 v[12:13], v9, s[2:3] offset:40
	global_load_b128 v[0:3], v9, s[2:3]
	s_waitcnt vmcnt(1)
	v_readfirstlane_b32 s6, v12
	v_readfirstlane_b32 s7, v13
	s_delay_alu instid0(VALU_DEP_1) | instskip(NEXT) | instid1(SALU_CYCLE_1)
	s_and_b64 s[6:7], s[4:5], s[6:7]
	s_mul_i32 s10, s7, 24
	s_mul_hi_u32 s11, s6, 24
	s_mul_i32 s12, s6, 24
	s_add_i32 s11, s11, s10
	s_waitcnt vmcnt(0)
	v_add_co_u32 v10, vcc_lo, v0, s12
	v_add_co_ci_u32_e32 v11, vcc_lo, s11, v1, vcc_lo
	s_and_saveexec_b32 s10, s0
	s_cbranch_execz .LBB22_257
; %bb.256:
	v_dual_mov_b32 v8, s1 :: v_dual_mov_b32 v15, 1
	v_dual_mov_b32 v14, 2 :: v_dual_mov_b32 v13, v9
	s_delay_alu instid0(VALU_DEP_2)
	v_mov_b32_e32 v12, v8
	global_store_b128 v[10:11], v[12:15], off offset:8
.LBB22_257:
	s_or_b32 exec_lo, exec_lo, s10
	s_lshl_b64 s[6:7], s[6:7], 12
	s_mov_b32 s12, 0
	v_add_co_u32 v2, vcc_lo, v2, s6
	v_add_co_ci_u32_e32 v3, vcc_lo, s7, v3, vcc_lo
	s_mov_b32 s15, s12
	s_delay_alu instid0(VALU_DEP_2)
	v_add_co_u32 v12, vcc_lo, v2, v34
	s_mov_b32 s13, s12
	s_mov_b32 s14, s12
	v_and_or_b32 v6, 0xffffff1f, v6, 32
	v_dual_mov_b32 v8, 0xb0 :: v_dual_mov_b32 v17, s15
	v_readfirstlane_b32 s6, v2
	v_readfirstlane_b32 s7, v3
	v_add_co_ci_u32_e32 v13, vcc_lo, 0, v3, vcc_lo
	v_dual_mov_b32 v16, s14 :: v_dual_mov_b32 v15, s13
	v_mov_b32_e32 v14, s12
	s_clause 0x3
	global_store_b128 v34, v[6:9], s[6:7]
	global_store_b128 v34, v[14:17], s[6:7] offset:16
	global_store_b128 v34, v[14:17], s[6:7] offset:32
	;; [unrolled: 1-line block ×3, first 2 shown]
	s_and_saveexec_b32 s1, s0
	s_cbranch_execz .LBB22_265
; %bb.258:
	v_dual_mov_b32 v8, 0 :: v_dual_mov_b32 v15, s5
	v_mov_b32_e32 v14, s4
	s_clause 0x1
	global_load_b64 v[16:17], v8, s[2:3] offset:32 glc
	global_load_b64 v[2:3], v8, s[2:3] offset:40
	s_waitcnt vmcnt(0)
	v_readfirstlane_b32 s6, v2
	v_readfirstlane_b32 s7, v3
	s_delay_alu instid0(VALU_DEP_1) | instskip(NEXT) | instid1(SALU_CYCLE_1)
	s_and_b64 s[6:7], s[6:7], s[4:5]
	s_mul_i32 s7, s7, 24
	s_mul_hi_u32 s10, s6, 24
	s_mul_i32 s6, s6, 24
	s_add_i32 s10, s10, s7
	v_add_co_u32 v6, vcc_lo, v0, s6
	v_add_co_ci_u32_e32 v7, vcc_lo, s10, v1, vcc_lo
	s_mov_b32 s6, exec_lo
	global_store_b64 v[6:7], v[16:17], off
	s_waitcnt_vscnt null, 0x0
	global_atomic_cmpswap_b64 v[2:3], v8, v[14:17], s[2:3] offset:32 glc
	s_waitcnt vmcnt(0)
	v_cmpx_ne_u64_e64 v[2:3], v[16:17]
	s_cbranch_execz .LBB22_261
; %bb.259:
	s_mov_b32 s7, 0
.LBB22_260:                             ; =>This Inner Loop Header: Depth=1
	v_dual_mov_b32 v0, s4 :: v_dual_mov_b32 v1, s5
	s_sleep 1
	global_store_b64 v[6:7], v[2:3], off
	s_waitcnt_vscnt null, 0x0
	global_atomic_cmpswap_b64 v[0:1], v8, v[0:3], s[2:3] offset:32 glc
	s_waitcnt vmcnt(0)
	v_cmp_eq_u64_e32 vcc_lo, v[0:1], v[2:3]
	v_dual_mov_b32 v3, v1 :: v_dual_mov_b32 v2, v0
	s_or_b32 s7, vcc_lo, s7
	s_delay_alu instid0(SALU_CYCLE_1)
	s_and_not1_b32 exec_lo, exec_lo, s7
	s_cbranch_execnz .LBB22_260
.LBB22_261:
	s_or_b32 exec_lo, exec_lo, s6
	v_mov_b32_e32 v3, 0
	s_mov_b32 s7, exec_lo
	s_mov_b32 s6, exec_lo
	v_mbcnt_lo_u32_b32 v2, s7, 0
	global_load_b64 v[0:1], v3, s[2:3] offset:16
	v_cmpx_eq_u32_e32 0, v2
	s_cbranch_execz .LBB22_263
; %bb.262:
	s_bcnt1_i32_b32 s7, s7
	s_delay_alu instid0(SALU_CYCLE_1)
	v_mov_b32_e32 v2, s7
	s_waitcnt vmcnt(0)
	global_atomic_add_u64 v[0:1], v[2:3], off offset:8
.LBB22_263:
	s_or_b32 exec_lo, exec_lo, s6
	s_waitcnt vmcnt(0)
	global_load_b64 v[2:3], v[0:1], off offset:16
	s_waitcnt vmcnt(0)
	v_cmp_eq_u64_e32 vcc_lo, 0, v[2:3]
	s_cbranch_vccnz .LBB22_265
; %bb.264:
	global_load_b32 v0, v[0:1], off offset:24
	s_waitcnt vmcnt(0)
	v_dual_mov_b32 v1, 0 :: v_dual_and_b32 v6, 0xffffff, v0
	s_waitcnt_vscnt null, 0x0
	global_store_b64 v[2:3], v[0:1], off
	v_readfirstlane_b32 m0, v6
	s_sendmsg sendmsg(MSG_INTERRUPT)
.LBB22_265:
	s_or_b32 exec_lo, exec_lo, s1
	s_branch .LBB22_269
	.p2align	6
.LBB22_266:                             ;   in Loop: Header=BB22_269 Depth=1
	s_or_b32 exec_lo, exec_lo, s1
	s_delay_alu instid0(VALU_DEP_1) | instskip(NEXT) | instid1(VALU_DEP_1)
	v_readfirstlane_b32 s1, v0
	s_cmp_eq_u32 s1, 0
	s_cbranch_scc1 .LBB22_268
; %bb.267:                              ;   in Loop: Header=BB22_269 Depth=1
	s_sleep 1
	s_cbranch_execnz .LBB22_269
	s_branch .LBB22_271
	.p2align	6
.LBB22_268:
	s_branch .LBB22_271
.LBB22_269:                             ; =>This Inner Loop Header: Depth=1
	v_mov_b32_e32 v0, 1
	s_and_saveexec_b32 s1, s0
	s_cbranch_execz .LBB22_266
; %bb.270:                              ;   in Loop: Header=BB22_269 Depth=1
	global_load_b32 v0, v[10:11], off offset:20 glc
	s_waitcnt vmcnt(0)
	buffer_gl1_inv
	buffer_gl0_inv
	v_and_b32_e32 v0, 1, v0
	s_branch .LBB22_266
.LBB22_271:
	global_load_b64 v[0:1], v[12:13], off
	s_and_saveexec_b32 s1, s0
	s_cbranch_execz .LBB22_275
; %bb.272:
	v_mov_b32_e32 v10, 0
	s_clause 0x2
	global_load_b64 v[2:3], v10, s[2:3] offset:40
	global_load_b64 v[11:12], v10, s[2:3] offset:24 glc
	global_load_b64 v[8:9], v10, s[2:3]
	s_waitcnt vmcnt(2)
	v_add_co_u32 v13, vcc_lo, v2, 1
	v_add_co_ci_u32_e32 v14, vcc_lo, 0, v3, vcc_lo
	s_delay_alu instid0(VALU_DEP_2) | instskip(NEXT) | instid1(VALU_DEP_2)
	v_add_co_u32 v6, vcc_lo, v13, s4
	v_add_co_ci_u32_e32 v7, vcc_lo, s5, v14, vcc_lo
	s_delay_alu instid0(VALU_DEP_1) | instskip(SKIP_1) | instid1(VALU_DEP_1)
	v_cmp_eq_u64_e32 vcc_lo, 0, v[6:7]
	v_dual_cndmask_b32 v7, v7, v14 :: v_dual_cndmask_b32 v6, v6, v13
	v_and_b32_e32 v3, v7, v3
	s_delay_alu instid0(VALU_DEP_2) | instskip(NEXT) | instid1(VALU_DEP_2)
	v_and_b32_e32 v2, v6, v2
	v_mul_lo_u32 v3, v3, 24
	s_delay_alu instid0(VALU_DEP_2) | instskip(SKIP_1) | instid1(VALU_DEP_2)
	v_mul_hi_u32 v13, v2, 24
	v_mul_lo_u32 v2, v2, 24
	v_add_nc_u32_e32 v3, v13, v3
	s_waitcnt vmcnt(0)
	s_delay_alu instid0(VALU_DEP_2) | instskip(SKIP_1) | instid1(VALU_DEP_3)
	v_add_co_u32 v2, vcc_lo, v8, v2
	v_mov_b32_e32 v8, v11
	v_add_co_ci_u32_e32 v3, vcc_lo, v9, v3, vcc_lo
	v_mov_b32_e32 v9, v12
	global_store_b64 v[2:3], v[11:12], off
	s_waitcnt_vscnt null, 0x0
	global_atomic_cmpswap_b64 v[8:9], v10, v[6:9], s[2:3] offset:24 glc
	s_waitcnt vmcnt(0)
	v_cmp_ne_u64_e32 vcc_lo, v[8:9], v[11:12]
	s_and_b32 exec_lo, exec_lo, vcc_lo
	s_cbranch_execz .LBB22_275
; %bb.273:
	s_mov_b32 s0, 0
.LBB22_274:                             ; =>This Inner Loop Header: Depth=1
	s_sleep 1
	global_store_b64 v[2:3], v[8:9], off
	s_waitcnt_vscnt null, 0x0
	global_atomic_cmpswap_b64 v[11:12], v10, v[6:9], s[2:3] offset:24 glc
	s_waitcnt vmcnt(0)
	v_cmp_eq_u64_e32 vcc_lo, v[11:12], v[8:9]
	v_dual_mov_b32 v8, v11 :: v_dual_mov_b32 v9, v12
	s_or_b32 s0, vcc_lo, s0
	s_delay_alu instid0(SALU_CYCLE_1)
	s_and_not1_b32 exec_lo, exec_lo, s0
	s_cbranch_execnz .LBB22_274
.LBB22_275:
	s_or_b32 exec_lo, exec_lo, s1
	v_dual_mov_b32 v7, v5 :: v_dual_mov_b32 v6, v4
	s_mov_b32 s0, 0
.LBB22_276:                             ; =>This Inner Loop Header: Depth=1
	flat_load_u8 v8, v[6:7]
	v_add_co_u32 v2, vcc_lo, v6, 1
	v_add_co_ci_u32_e32 v3, vcc_lo, 0, v7, vcc_lo
	s_delay_alu instid0(VALU_DEP_1) | instskip(SKIP_3) | instid1(SALU_CYCLE_1)
	v_dual_mov_b32 v7, v3 :: v_dual_mov_b32 v6, v2
	s_waitcnt vmcnt(0) lgkmcnt(0)
	v_cmp_eq_u16_e32 vcc_lo, 0, v8
	s_or_b32 s0, vcc_lo, s0
	s_and_not1_b32 exec_lo, exec_lo, s0
	s_cbranch_execnz .LBB22_276
; %bb.277:
	s_or_b32 exec_lo, exec_lo, s0
	s_delay_alu instid0(SALU_CYCLE_1)
	s_mov_b32 s0, exec_lo
	v_cmpx_ne_u64_e32 0, v[4:5]
	s_xor_b32 s10, exec_lo, s0
	s_cbranch_execz .LBB22_363
; %bb.278:
	v_sub_nc_u32_e32 v26, v2, v4
	v_dual_mov_b32 v7, 0 :: v_dual_and_b32 v32, 2, v0
	v_dual_mov_b32 v9, 1 :: v_dual_and_b32 v0, -3, v0
	v_mov_b32_e32 v8, 2
	s_delay_alu instid0(VALU_DEP_4)
	v_ashrrev_i32_e32 v27, 31, v26
	s_mov_b32 s12, 0
	s_mov_b32 s11, 0
	s_branch .LBB22_280
.LBB22_279:                             ;   in Loop: Header=BB22_280 Depth=1
	s_or_b32 exec_lo, exec_lo, s1
	v_sub_co_u32 v26, vcc_lo, v26, v28
	v_sub_co_ci_u32_e32 v27, vcc_lo, v27, v29, vcc_lo
	v_add_co_u32 v4, s0, v4, v28
	s_delay_alu instid0(VALU_DEP_1) | instskip(NEXT) | instid1(VALU_DEP_3)
	v_add_co_ci_u32_e64 v5, s0, v5, v29, s0
	v_cmp_eq_u64_e32 vcc_lo, 0, v[26:27]
	s_or_b32 s11, vcc_lo, s11
	s_delay_alu instid0(SALU_CYCLE_1)
	s_and_not1_b32 exec_lo, exec_lo, s11
	s_cbranch_execz .LBB22_362
.LBB22_280:                             ; =>This Loop Header: Depth=1
                                        ;     Child Loop BB22_283 Depth 2
                                        ;     Child Loop BB22_291 Depth 2
	;; [unrolled: 1-line block ×11, first 2 shown]
	s_delay_alu instid0(VALU_DEP_1)
	v_cmp_gt_u64_e32 vcc_lo, 56, v[26:27]
	s_mov_b32 s1, exec_lo
                                        ; implicit-def: $vgpr2_vgpr3
                                        ; implicit-def: $sgpr4
	v_dual_cndmask_b32 v29, 0, v27 :: v_dual_cndmask_b32 v28, 56, v26
	v_cmpx_gt_u64_e32 8, v[26:27]
	s_xor_b32 s1, exec_lo, s1
	s_cbranch_execz .LBB22_286
; %bb.281:                              ;   in Loop: Header=BB22_280 Depth=1
	s_waitcnt vmcnt(0)
	v_mov_b32_e32 v2, 0
	v_mov_b32_e32 v3, 0
	s_mov_b64 s[4:5], 0
	s_mov_b32 s6, exec_lo
	v_cmpx_ne_u64_e32 0, v[26:27]
	s_cbranch_execz .LBB22_285
; %bb.282:                              ;   in Loop: Header=BB22_280 Depth=1
	v_lshlrev_b64 v[10:11], 3, v[28:29]
	v_mov_b32_e32 v2, 0
	v_dual_mov_b32 v3, 0 :: v_dual_mov_b32 v12, v5
	v_mov_b32_e32 v11, v4
	s_mov_b32 s7, 0
	.p2align	6
.LBB22_283:                             ;   Parent Loop BB22_280 Depth=1
                                        ; =>  This Inner Loop Header: Depth=2
	flat_load_u8 v6, v[11:12]
	v_mov_b32_e32 v14, s12
	v_add_co_u32 v11, vcc_lo, v11, 1
	v_add_co_ci_u32_e32 v12, vcc_lo, 0, v12, vcc_lo
	s_waitcnt vmcnt(0) lgkmcnt(0)
	v_and_b32_e32 v13, 0xffff, v6
	s_delay_alu instid0(VALU_DEP_1) | instskip(SKIP_3) | instid1(VALU_DEP_2)
	v_lshlrev_b64 v[13:14], s4, v[13:14]
	s_add_u32 s4, s4, 8
	s_addc_u32 s5, s5, 0
	v_cmp_eq_u32_e64 s0, s4, v10
	v_or_b32_e32 v3, v14, v3
	s_delay_alu instid0(VALU_DEP_3) | instskip(NEXT) | instid1(VALU_DEP_3)
	v_or_b32_e32 v2, v13, v2
	s_or_b32 s7, s0, s7
	s_delay_alu instid0(SALU_CYCLE_1)
	s_and_not1_b32 exec_lo, exec_lo, s7
	s_cbranch_execnz .LBB22_283
; %bb.284:                              ;   in Loop: Header=BB22_280 Depth=1
	s_or_b32 exec_lo, exec_lo, s7
.LBB22_285:                             ;   in Loop: Header=BB22_280 Depth=1
	s_delay_alu instid0(SALU_CYCLE_1)
	s_or_b32 exec_lo, exec_lo, s6
	s_mov_b32 s4, 0
.LBB22_286:                             ;   in Loop: Header=BB22_280 Depth=1
	s_or_saveexec_b32 s0, s1
	v_dual_mov_b32 v6, s4 :: v_dual_mov_b32 v23, v5
	v_mov_b32_e32 v22, v4
	s_xor_b32 exec_lo, exec_lo, s0
	s_cbranch_execz .LBB22_288
; %bb.287:                              ;   in Loop: Header=BB22_280 Depth=1
	s_waitcnt vmcnt(0)
	flat_load_b64 v[2:3], v[4:5]
	v_add_co_u32 v22, vcc_lo, v4, 8
	v_add_co_ci_u32_e32 v23, vcc_lo, 0, v5, vcc_lo
	s_waitcnt vmcnt(0) lgkmcnt(0)
	v_and_b32_e32 v6, 0xff, v3
	v_and_b32_e32 v10, 0xff00, v3
	;; [unrolled: 1-line block ×4, first 2 shown]
	v_or3_b32 v2, v2, 0, 0
	s_delay_alu instid0(VALU_DEP_4) | instskip(SKIP_1) | instid1(VALU_DEP_2)
	v_or_b32_e32 v10, v6, v10
	v_add_nc_u32_e32 v6, -8, v28
	v_or3_b32 v3, v10, v11, v3
.LBB22_288:                             ;   in Loop: Header=BB22_280 Depth=1
	s_or_b32 exec_lo, exec_lo, s0
                                        ; implicit-def: $vgpr10_vgpr11
                                        ; implicit-def: $sgpr1
	s_delay_alu instid0(SALU_CYCLE_1) | instskip(NEXT) | instid1(VALU_DEP_2)
	s_mov_b32 s0, exec_lo
	v_cmpx_gt_u32_e32 8, v6
	s_xor_b32 s6, exec_lo, s0
	s_cbranch_execz .LBB22_294
; %bb.289:                              ;   in Loop: Header=BB22_280 Depth=1
	v_mov_b32_e32 v10, 0
	v_mov_b32_e32 v11, 0
	s_mov_b32 s7, exec_lo
	v_cmpx_ne_u32_e32 0, v6
	s_cbranch_execz .LBB22_293
; %bb.290:                              ;   in Loop: Header=BB22_280 Depth=1
	v_mov_b32_e32 v10, 0
	v_mov_b32_e32 v11, 0
	s_mov_b64 s[0:1], 0
	s_mov_b32 s13, 0
	s_mov_b64 s[4:5], 0
	.p2align	6
.LBB22_291:                             ;   Parent Loop BB22_280 Depth=1
                                        ; =>  This Inner Loop Header: Depth=2
	s_delay_alu instid0(SALU_CYCLE_1)
	v_add_co_u32 v12, vcc_lo, v22, s4
	v_add_co_ci_u32_e32 v13, vcc_lo, s5, v23, vcc_lo
	s_add_u32 s4, s4, 1
	s_addc_u32 s5, s5, 0
	v_cmp_eq_u32_e32 vcc_lo, s4, v6
	flat_load_u8 v12, v[12:13]
	s_waitcnt vmcnt(0) lgkmcnt(0)
	v_dual_mov_b32 v13, s12 :: v_dual_and_b32 v12, 0xffff, v12
	s_delay_alu instid0(VALU_DEP_1) | instskip(SKIP_3) | instid1(VALU_DEP_1)
	v_lshlrev_b64 v[12:13], s0, v[12:13]
	s_add_u32 s0, s0, 8
	s_addc_u32 s1, s1, 0
	s_or_b32 s13, vcc_lo, s13
	v_or_b32_e32 v11, v13, v11
	s_delay_alu instid0(VALU_DEP_2)
	v_or_b32_e32 v10, v12, v10
	s_and_not1_b32 exec_lo, exec_lo, s13
	s_cbranch_execnz .LBB22_291
; %bb.292:                              ;   in Loop: Header=BB22_280 Depth=1
	s_or_b32 exec_lo, exec_lo, s13
.LBB22_293:                             ;   in Loop: Header=BB22_280 Depth=1
	s_delay_alu instid0(SALU_CYCLE_1)
	s_or_b32 exec_lo, exec_lo, s7
	s_mov_b32 s1, 0
                                        ; implicit-def: $vgpr6
.LBB22_294:                             ;   in Loop: Header=BB22_280 Depth=1
	s_or_saveexec_b32 s0, s6
	v_mov_b32_e32 v14, s1
	s_xor_b32 exec_lo, exec_lo, s0
	s_cbranch_execz .LBB22_296
; %bb.295:                              ;   in Loop: Header=BB22_280 Depth=1
	flat_load_b64 v[10:11], v[22:23]
	v_add_co_u32 v22, vcc_lo, v22, 8
	v_add_nc_u32_e32 v14, -8, v6
	v_add_co_ci_u32_e32 v23, vcc_lo, 0, v23, vcc_lo
	s_waitcnt vmcnt(0) lgkmcnt(0)
	v_and_b32_e32 v12, 0xff, v11
	v_and_b32_e32 v13, 0xff00, v11
	;; [unrolled: 1-line block ×4, first 2 shown]
	v_or3_b32 v10, v10, 0, 0
	s_delay_alu instid0(VALU_DEP_4) | instskip(NEXT) | instid1(VALU_DEP_1)
	v_or_b32_e32 v12, v12, v13
	v_or3_b32 v11, v12, v15, v11
.LBB22_296:                             ;   in Loop: Header=BB22_280 Depth=1
	s_or_b32 exec_lo, exec_lo, s0
                                        ; implicit-def: $sgpr1
	s_delay_alu instid0(SALU_CYCLE_1)
	s_mov_b32 s0, exec_lo
	v_cmpx_gt_u32_e32 8, v14
	s_xor_b32 s6, exec_lo, s0
	s_cbranch_execz .LBB22_302
; %bb.297:                              ;   in Loop: Header=BB22_280 Depth=1
	v_mov_b32_e32 v12, 0
	v_mov_b32_e32 v13, 0
	s_mov_b32 s7, exec_lo
	v_cmpx_ne_u32_e32 0, v14
	s_cbranch_execz .LBB22_301
; %bb.298:                              ;   in Loop: Header=BB22_280 Depth=1
	v_mov_b32_e32 v12, 0
	v_mov_b32_e32 v13, 0
	s_mov_b64 s[0:1], 0
	s_mov_b32 s13, 0
	s_mov_b64 s[4:5], 0
	.p2align	6
.LBB22_299:                             ;   Parent Loop BB22_280 Depth=1
                                        ; =>  This Inner Loop Header: Depth=2
	s_delay_alu instid0(SALU_CYCLE_1)
	v_add_co_u32 v15, vcc_lo, v22, s4
	v_add_co_ci_u32_e32 v16, vcc_lo, s5, v23, vcc_lo
	s_add_u32 s4, s4, 1
	s_addc_u32 s5, s5, 0
	v_cmp_eq_u32_e32 vcc_lo, s4, v14
	flat_load_u8 v6, v[15:16]
	s_waitcnt vmcnt(0) lgkmcnt(0)
	v_dual_mov_b32 v16, s12 :: v_dual_and_b32 v15, 0xffff, v6
	s_delay_alu instid0(VALU_DEP_1) | instskip(SKIP_3) | instid1(VALU_DEP_1)
	v_lshlrev_b64 v[15:16], s0, v[15:16]
	s_add_u32 s0, s0, 8
	s_addc_u32 s1, s1, 0
	s_or_b32 s13, vcc_lo, s13
	v_or_b32_e32 v13, v16, v13
	s_delay_alu instid0(VALU_DEP_2)
	v_or_b32_e32 v12, v15, v12
	s_and_not1_b32 exec_lo, exec_lo, s13
	s_cbranch_execnz .LBB22_299
; %bb.300:                              ;   in Loop: Header=BB22_280 Depth=1
	s_or_b32 exec_lo, exec_lo, s13
.LBB22_301:                             ;   in Loop: Header=BB22_280 Depth=1
	s_delay_alu instid0(SALU_CYCLE_1)
	s_or_b32 exec_lo, exec_lo, s7
	s_mov_b32 s1, 0
                                        ; implicit-def: $vgpr14
.LBB22_302:                             ;   in Loop: Header=BB22_280 Depth=1
	s_or_saveexec_b32 s0, s6
	v_mov_b32_e32 v6, s1
	s_xor_b32 exec_lo, exec_lo, s0
	s_cbranch_execz .LBB22_304
; %bb.303:                              ;   in Loop: Header=BB22_280 Depth=1
	flat_load_b64 v[12:13], v[22:23]
	v_add_co_u32 v22, vcc_lo, v22, 8
	v_add_co_ci_u32_e32 v23, vcc_lo, 0, v23, vcc_lo
	s_waitcnt vmcnt(0) lgkmcnt(0)
	v_and_b32_e32 v6, 0xff, v13
	v_and_b32_e32 v15, 0xff00, v13
	;; [unrolled: 1-line block ×4, first 2 shown]
	v_or3_b32 v12, v12, 0, 0
	s_delay_alu instid0(VALU_DEP_4) | instskip(SKIP_1) | instid1(VALU_DEP_2)
	v_or_b32_e32 v15, v6, v15
	v_add_nc_u32_e32 v6, -8, v14
	v_or3_b32 v13, v15, v16, v13
.LBB22_304:                             ;   in Loop: Header=BB22_280 Depth=1
	s_or_b32 exec_lo, exec_lo, s0
                                        ; implicit-def: $vgpr14_vgpr15
                                        ; implicit-def: $sgpr1
	s_delay_alu instid0(SALU_CYCLE_1) | instskip(NEXT) | instid1(VALU_DEP_1)
	s_mov_b32 s0, exec_lo
	v_cmpx_gt_u32_e32 8, v6
	s_xor_b32 s6, exec_lo, s0
	s_cbranch_execz .LBB22_310
; %bb.305:                              ;   in Loop: Header=BB22_280 Depth=1
	v_mov_b32_e32 v14, 0
	v_mov_b32_e32 v15, 0
	s_mov_b32 s7, exec_lo
	v_cmpx_ne_u32_e32 0, v6
	s_cbranch_execz .LBB22_309
; %bb.306:                              ;   in Loop: Header=BB22_280 Depth=1
	v_mov_b32_e32 v14, 0
	v_mov_b32_e32 v15, 0
	s_mov_b64 s[0:1], 0
	s_mov_b32 s13, 0
	s_mov_b64 s[4:5], 0
	.p2align	6
.LBB22_307:                             ;   Parent Loop BB22_280 Depth=1
                                        ; =>  This Inner Loop Header: Depth=2
	s_delay_alu instid0(SALU_CYCLE_1)
	v_add_co_u32 v16, vcc_lo, v22, s4
	v_add_co_ci_u32_e32 v17, vcc_lo, s5, v23, vcc_lo
	s_add_u32 s4, s4, 1
	s_addc_u32 s5, s5, 0
	v_cmp_eq_u32_e32 vcc_lo, s4, v6
	flat_load_u8 v16, v[16:17]
	s_waitcnt vmcnt(0) lgkmcnt(0)
	v_dual_mov_b32 v17, s12 :: v_dual_and_b32 v16, 0xffff, v16
	s_delay_alu instid0(VALU_DEP_1) | instskip(SKIP_3) | instid1(VALU_DEP_1)
	v_lshlrev_b64 v[16:17], s0, v[16:17]
	s_add_u32 s0, s0, 8
	s_addc_u32 s1, s1, 0
	s_or_b32 s13, vcc_lo, s13
	v_or_b32_e32 v15, v17, v15
	s_delay_alu instid0(VALU_DEP_2)
	v_or_b32_e32 v14, v16, v14
	s_and_not1_b32 exec_lo, exec_lo, s13
	s_cbranch_execnz .LBB22_307
; %bb.308:                              ;   in Loop: Header=BB22_280 Depth=1
	s_or_b32 exec_lo, exec_lo, s13
.LBB22_309:                             ;   in Loop: Header=BB22_280 Depth=1
	s_delay_alu instid0(SALU_CYCLE_1)
	s_or_b32 exec_lo, exec_lo, s7
	s_mov_b32 s1, 0
                                        ; implicit-def: $vgpr6
.LBB22_310:                             ;   in Loop: Header=BB22_280 Depth=1
	s_or_saveexec_b32 s0, s6
	v_mov_b32_e32 v18, s1
	s_xor_b32 exec_lo, exec_lo, s0
	s_cbranch_execz .LBB22_312
; %bb.311:                              ;   in Loop: Header=BB22_280 Depth=1
	flat_load_b64 v[14:15], v[22:23]
	v_add_co_u32 v22, vcc_lo, v22, 8
	v_add_nc_u32_e32 v18, -8, v6
	v_add_co_ci_u32_e32 v23, vcc_lo, 0, v23, vcc_lo
	s_waitcnt vmcnt(0) lgkmcnt(0)
	v_and_b32_e32 v16, 0xff, v15
	v_and_b32_e32 v17, 0xff00, v15
	;; [unrolled: 1-line block ×4, first 2 shown]
	v_or3_b32 v14, v14, 0, 0
	s_delay_alu instid0(VALU_DEP_4) | instskip(NEXT) | instid1(VALU_DEP_1)
	v_or_b32_e32 v16, v16, v17
	v_or3_b32 v15, v16, v19, v15
.LBB22_312:                             ;   in Loop: Header=BB22_280 Depth=1
	s_or_b32 exec_lo, exec_lo, s0
                                        ; implicit-def: $sgpr1
	s_delay_alu instid0(SALU_CYCLE_1)
	s_mov_b32 s0, exec_lo
	v_cmpx_gt_u32_e32 8, v18
	s_xor_b32 s6, exec_lo, s0
	s_cbranch_execz .LBB22_318
; %bb.313:                              ;   in Loop: Header=BB22_280 Depth=1
	v_mov_b32_e32 v16, 0
	v_mov_b32_e32 v17, 0
	s_mov_b32 s7, exec_lo
	v_cmpx_ne_u32_e32 0, v18
	s_cbranch_execz .LBB22_317
; %bb.314:                              ;   in Loop: Header=BB22_280 Depth=1
	v_mov_b32_e32 v16, 0
	v_mov_b32_e32 v17, 0
	s_mov_b64 s[0:1], 0
	s_mov_b32 s13, 0
	s_mov_b64 s[4:5], 0
	.p2align	6
.LBB22_315:                             ;   Parent Loop BB22_280 Depth=1
                                        ; =>  This Inner Loop Header: Depth=2
	s_delay_alu instid0(SALU_CYCLE_1)
	v_add_co_u32 v19, vcc_lo, v22, s4
	v_add_co_ci_u32_e32 v20, vcc_lo, s5, v23, vcc_lo
	s_add_u32 s4, s4, 1
	s_addc_u32 s5, s5, 0
	v_cmp_eq_u32_e32 vcc_lo, s4, v18
	flat_load_u8 v6, v[19:20]
	s_waitcnt vmcnt(0) lgkmcnt(0)
	v_dual_mov_b32 v20, s12 :: v_dual_and_b32 v19, 0xffff, v6
	s_delay_alu instid0(VALU_DEP_1) | instskip(SKIP_3) | instid1(VALU_DEP_1)
	v_lshlrev_b64 v[19:20], s0, v[19:20]
	s_add_u32 s0, s0, 8
	s_addc_u32 s1, s1, 0
	s_or_b32 s13, vcc_lo, s13
	v_or_b32_e32 v17, v20, v17
	s_delay_alu instid0(VALU_DEP_2)
	v_or_b32_e32 v16, v19, v16
	s_and_not1_b32 exec_lo, exec_lo, s13
	s_cbranch_execnz .LBB22_315
; %bb.316:                              ;   in Loop: Header=BB22_280 Depth=1
	s_or_b32 exec_lo, exec_lo, s13
.LBB22_317:                             ;   in Loop: Header=BB22_280 Depth=1
	s_delay_alu instid0(SALU_CYCLE_1)
	s_or_b32 exec_lo, exec_lo, s7
	s_mov_b32 s1, 0
                                        ; implicit-def: $vgpr18
.LBB22_318:                             ;   in Loop: Header=BB22_280 Depth=1
	s_or_saveexec_b32 s0, s6
	v_mov_b32_e32 v6, s1
	s_xor_b32 exec_lo, exec_lo, s0
	s_cbranch_execz .LBB22_320
; %bb.319:                              ;   in Loop: Header=BB22_280 Depth=1
	flat_load_b64 v[16:17], v[22:23]
	v_add_co_u32 v22, vcc_lo, v22, 8
	v_add_co_ci_u32_e32 v23, vcc_lo, 0, v23, vcc_lo
	s_waitcnt vmcnt(0) lgkmcnt(0)
	v_and_b32_e32 v6, 0xff, v17
	v_and_b32_e32 v19, 0xff00, v17
	;; [unrolled: 1-line block ×4, first 2 shown]
	v_or3_b32 v16, v16, 0, 0
	s_delay_alu instid0(VALU_DEP_4) | instskip(SKIP_1) | instid1(VALU_DEP_2)
	v_or_b32_e32 v19, v6, v19
	v_add_nc_u32_e32 v6, -8, v18
	v_or3_b32 v17, v19, v20, v17
.LBB22_320:                             ;   in Loop: Header=BB22_280 Depth=1
	s_or_b32 exec_lo, exec_lo, s0
                                        ; implicit-def: $vgpr18_vgpr19
                                        ; implicit-def: $sgpr1
	s_delay_alu instid0(SALU_CYCLE_1) | instskip(NEXT) | instid1(VALU_DEP_1)
	s_mov_b32 s0, exec_lo
	v_cmpx_gt_u32_e32 8, v6
	s_xor_b32 s6, exec_lo, s0
	s_cbranch_execz .LBB22_326
; %bb.321:                              ;   in Loop: Header=BB22_280 Depth=1
	v_mov_b32_e32 v18, 0
	v_mov_b32_e32 v19, 0
	s_mov_b32 s7, exec_lo
	v_cmpx_ne_u32_e32 0, v6
	s_cbranch_execz .LBB22_325
; %bb.322:                              ;   in Loop: Header=BB22_280 Depth=1
	v_mov_b32_e32 v18, 0
	v_mov_b32_e32 v19, 0
	s_mov_b64 s[0:1], 0
	s_mov_b32 s13, 0
	s_mov_b64 s[4:5], 0
	.p2align	6
.LBB22_323:                             ;   Parent Loop BB22_280 Depth=1
                                        ; =>  This Inner Loop Header: Depth=2
	s_delay_alu instid0(SALU_CYCLE_1)
	v_add_co_u32 v20, vcc_lo, v22, s4
	v_add_co_ci_u32_e32 v21, vcc_lo, s5, v23, vcc_lo
	s_add_u32 s4, s4, 1
	s_addc_u32 s5, s5, 0
	v_cmp_eq_u32_e32 vcc_lo, s4, v6
	flat_load_u8 v20, v[20:21]
	s_waitcnt vmcnt(0) lgkmcnt(0)
	v_dual_mov_b32 v21, s12 :: v_dual_and_b32 v20, 0xffff, v20
	s_delay_alu instid0(VALU_DEP_1) | instskip(SKIP_3) | instid1(VALU_DEP_1)
	v_lshlrev_b64 v[20:21], s0, v[20:21]
	s_add_u32 s0, s0, 8
	s_addc_u32 s1, s1, 0
	s_or_b32 s13, vcc_lo, s13
	v_or_b32_e32 v19, v21, v19
	s_delay_alu instid0(VALU_DEP_2)
	v_or_b32_e32 v18, v20, v18
	s_and_not1_b32 exec_lo, exec_lo, s13
	s_cbranch_execnz .LBB22_323
; %bb.324:                              ;   in Loop: Header=BB22_280 Depth=1
	s_or_b32 exec_lo, exec_lo, s13
.LBB22_325:                             ;   in Loop: Header=BB22_280 Depth=1
	s_delay_alu instid0(SALU_CYCLE_1)
	s_or_b32 exec_lo, exec_lo, s7
	s_mov_b32 s1, 0
                                        ; implicit-def: $vgpr6
.LBB22_326:                             ;   in Loop: Header=BB22_280 Depth=1
	s_or_saveexec_b32 s0, s6
	v_mov_b32_e32 v24, s1
	s_xor_b32 exec_lo, exec_lo, s0
	s_cbranch_execz .LBB22_328
; %bb.327:                              ;   in Loop: Header=BB22_280 Depth=1
	flat_load_b64 v[18:19], v[22:23]
	v_add_co_u32 v22, vcc_lo, v22, 8
	v_add_nc_u32_e32 v24, -8, v6
	v_add_co_ci_u32_e32 v23, vcc_lo, 0, v23, vcc_lo
	s_waitcnt vmcnt(0) lgkmcnt(0)
	v_and_b32_e32 v20, 0xff, v19
	v_and_b32_e32 v21, 0xff00, v19
	;; [unrolled: 1-line block ×4, first 2 shown]
	v_or3_b32 v18, v18, 0, 0
	s_delay_alu instid0(VALU_DEP_4) | instskip(NEXT) | instid1(VALU_DEP_1)
	v_or_b32_e32 v20, v20, v21
	v_or3_b32 v19, v20, v25, v19
.LBB22_328:                             ;   in Loop: Header=BB22_280 Depth=1
	s_or_b32 exec_lo, exec_lo, s0
	s_delay_alu instid0(SALU_CYCLE_1)
	s_mov_b32 s0, exec_lo
	v_cmpx_gt_u32_e32 8, v24
	s_xor_b32 s4, exec_lo, s0
	s_cbranch_execz .LBB22_334
; %bb.329:                              ;   in Loop: Header=BB22_280 Depth=1
	v_mov_b32_e32 v20, 0
	v_mov_b32_e32 v21, 0
	s_mov_b32 s5, exec_lo
	v_cmpx_ne_u32_e32 0, v24
	s_cbranch_execz .LBB22_333
; %bb.330:                              ;   in Loop: Header=BB22_280 Depth=1
	v_mov_b32_e32 v20, 0
	v_mov_b32_e32 v21, 0
	s_mov_b64 s[0:1], 0
	s_mov_b32 s6, 0
	.p2align	6
.LBB22_331:                             ;   Parent Loop BB22_280 Depth=1
                                        ; =>  This Inner Loop Header: Depth=2
	flat_load_u8 v6, v[22:23]
	v_dual_mov_b32 v31, s12 :: v_dual_add_nc_u32 v24, -1, v24
	v_add_co_u32 v22, vcc_lo, v22, 1
	v_add_co_ci_u32_e32 v23, vcc_lo, 0, v23, vcc_lo
	s_delay_alu instid0(VALU_DEP_3) | instskip(SKIP_2) | instid1(VALU_DEP_1)
	v_cmp_eq_u32_e32 vcc_lo, 0, v24
	s_waitcnt vmcnt(0) lgkmcnt(0)
	v_and_b32_e32 v30, 0xffff, v6
	v_lshlrev_b64 v[30:31], s0, v[30:31]
	s_add_u32 s0, s0, 8
	s_addc_u32 s1, s1, 0
	s_or_b32 s6, vcc_lo, s6
	s_delay_alu instid0(VALU_DEP_1) | instskip(NEXT) | instid1(VALU_DEP_2)
	v_or_b32_e32 v21, v31, v21
	v_or_b32_e32 v20, v30, v20
	s_and_not1_b32 exec_lo, exec_lo, s6
	s_cbranch_execnz .LBB22_331
; %bb.332:                              ;   in Loop: Header=BB22_280 Depth=1
	s_or_b32 exec_lo, exec_lo, s6
.LBB22_333:                             ;   in Loop: Header=BB22_280 Depth=1
	s_delay_alu instid0(SALU_CYCLE_1)
	s_or_b32 exec_lo, exec_lo, s5
                                        ; implicit-def: $vgpr22_vgpr23
.LBB22_334:                             ;   in Loop: Header=BB22_280 Depth=1
	s_and_not1_saveexec_b32 s0, s4
	s_cbranch_execz .LBB22_336
; %bb.335:                              ;   in Loop: Header=BB22_280 Depth=1
	flat_load_b64 v[20:21], v[22:23]
	s_waitcnt vmcnt(0) lgkmcnt(0)
	v_and_b32_e32 v6, 0xff, v21
	v_and_b32_e32 v22, 0xff00, v21
	;; [unrolled: 1-line block ×4, first 2 shown]
	v_or3_b32 v20, v20, 0, 0
	s_delay_alu instid0(VALU_DEP_4) | instskip(NEXT) | instid1(VALU_DEP_1)
	v_or_b32_e32 v6, v6, v22
	v_or3_b32 v21, v6, v23, v21
.LBB22_336:                             ;   in Loop: Header=BB22_280 Depth=1
	s_or_b32 exec_lo, exec_lo, s0
	v_readfirstlane_b32 s0, v35
	v_mov_b32_e32 v30, 0
	v_mov_b32_e32 v31, 0
	s_delay_alu instid0(VALU_DEP_3) | instskip(NEXT) | instid1(VALU_DEP_1)
	v_cmp_eq_u32_e64 s0, s0, v35
	s_and_saveexec_b32 s1, s0
	s_cbranch_execz .LBB22_342
; %bb.337:                              ;   in Loop: Header=BB22_280 Depth=1
	global_load_b64 v[24:25], v7, s[2:3] offset:24 glc
	s_waitcnt vmcnt(0)
	buffer_gl1_inv
	buffer_gl0_inv
	s_clause 0x1
	global_load_b64 v[22:23], v7, s[2:3] offset:40
	global_load_b64 v[30:31], v7, s[2:3]
	s_mov_b32 s4, exec_lo
	s_waitcnt vmcnt(1)
	v_and_b32_e32 v6, v23, v25
	v_and_b32_e32 v22, v22, v24
	s_delay_alu instid0(VALU_DEP_2) | instskip(NEXT) | instid1(VALU_DEP_2)
	v_mul_lo_u32 v6, v6, 24
	v_mul_hi_u32 v23, v22, 24
	v_mul_lo_u32 v22, v22, 24
	s_delay_alu instid0(VALU_DEP_2) | instskip(SKIP_1) | instid1(VALU_DEP_2)
	v_add_nc_u32_e32 v6, v23, v6
	s_waitcnt vmcnt(0)
	v_add_co_u32 v22, vcc_lo, v30, v22
	s_delay_alu instid0(VALU_DEP_2)
	v_add_co_ci_u32_e32 v23, vcc_lo, v31, v6, vcc_lo
	global_load_b64 v[22:23], v[22:23], off glc
	s_waitcnt vmcnt(0)
	global_atomic_cmpswap_b64 v[30:31], v7, v[22:25], s[2:3] offset:24 glc
	s_waitcnt vmcnt(0)
	buffer_gl1_inv
	buffer_gl0_inv
	v_cmpx_ne_u64_e64 v[30:31], v[24:25]
	s_cbranch_execz .LBB22_341
; %bb.338:                              ;   in Loop: Header=BB22_280 Depth=1
	s_mov_b32 s5, 0
	.p2align	6
.LBB22_339:                             ;   Parent Loop BB22_280 Depth=1
                                        ; =>  This Inner Loop Header: Depth=2
	s_sleep 1
	s_clause 0x1
	global_load_b64 v[22:23], v7, s[2:3] offset:40
	global_load_b64 v[36:37], v7, s[2:3]
	v_dual_mov_b32 v24, v30 :: v_dual_mov_b32 v25, v31
	s_waitcnt vmcnt(1)
	s_delay_alu instid0(VALU_DEP_1) | instskip(NEXT) | instid1(VALU_DEP_2)
	v_and_b32_e32 v6, v22, v24
	v_and_b32_e32 v33, v23, v25
	s_waitcnt vmcnt(0)
	s_delay_alu instid0(VALU_DEP_2) | instskip(NEXT) | instid1(VALU_DEP_1)
	v_mad_u64_u32 v[30:31], null, v6, 24, v[36:37]
	v_mov_b32_e32 v6, v31
	s_delay_alu instid0(VALU_DEP_1) | instskip(NEXT) | instid1(VALU_DEP_1)
	v_mad_u64_u32 v[22:23], null, v33, 24, v[6:7]
	v_mov_b32_e32 v31, v22
	global_load_b64 v[22:23], v[30:31], off glc
	s_waitcnt vmcnt(0)
	global_atomic_cmpswap_b64 v[30:31], v7, v[22:25], s[2:3] offset:24 glc
	s_waitcnt vmcnt(0)
	buffer_gl1_inv
	buffer_gl0_inv
	v_cmp_eq_u64_e32 vcc_lo, v[30:31], v[24:25]
	s_or_b32 s5, vcc_lo, s5
	s_delay_alu instid0(SALU_CYCLE_1)
	s_and_not1_b32 exec_lo, exec_lo, s5
	s_cbranch_execnz .LBB22_339
; %bb.340:                              ;   in Loop: Header=BB22_280 Depth=1
	s_or_b32 exec_lo, exec_lo, s5
.LBB22_341:                             ;   in Loop: Header=BB22_280 Depth=1
	s_delay_alu instid0(SALU_CYCLE_1)
	s_or_b32 exec_lo, exec_lo, s4
.LBB22_342:                             ;   in Loop: Header=BB22_280 Depth=1
	s_delay_alu instid0(SALU_CYCLE_1)
	s_or_b32 exec_lo, exec_lo, s1
	s_clause 0x1
	global_load_b64 v[36:37], v7, s[2:3] offset:40
	global_load_b128 v[22:25], v7, s[2:3]
	v_readfirstlane_b32 s4, v30
	v_readfirstlane_b32 s5, v31
	s_mov_b32 s1, exec_lo
	s_waitcnt vmcnt(1)
	v_readfirstlane_b32 s6, v36
	v_readfirstlane_b32 s7, v37
	s_delay_alu instid0(VALU_DEP_1) | instskip(NEXT) | instid1(SALU_CYCLE_1)
	s_and_b64 s[6:7], s[4:5], s[6:7]
	s_mul_i32 s13, s7, 24
	s_mul_hi_u32 s14, s6, 24
	s_mul_i32 s15, s6, 24
	s_add_i32 s14, s14, s13
	s_waitcnt vmcnt(0)
	v_add_co_u32 v30, vcc_lo, v22, s15
	v_add_co_ci_u32_e32 v31, vcc_lo, s14, v23, vcc_lo
	s_and_saveexec_b32 s13, s0
	s_cbranch_execz .LBB22_344
; %bb.343:                              ;   in Loop: Header=BB22_280 Depth=1
	v_mov_b32_e32 v6, s1
	global_store_b128 v[30:31], v[6:9], off offset:8
.LBB22_344:                             ;   in Loop: Header=BB22_280 Depth=1
	s_or_b32 exec_lo, exec_lo, s13
	v_cmp_lt_u64_e32 vcc_lo, 56, v[26:27]
	v_or_b32_e32 v6, 0, v1
	v_or_b32_e32 v33, v0, v32
	v_lshl_add_u32 v36, v28, 2, 28
	s_lshl_b64 s[6:7], s[6:7], 12
	s_delay_alu instid0(SALU_CYCLE_1) | instskip(NEXT) | instid1(VALU_DEP_1)
	v_add_co_u32 v24, s1, v24, s6
	v_add_co_ci_u32_e64 v25, s1, s7, v25, s1
	v_dual_cndmask_b32 v1, v6, v1 :: v_dual_cndmask_b32 v0, v33, v0
	v_and_b32_e32 v6, 0x1e0, v36
	s_delay_alu instid0(VALU_DEP_4) | instskip(NEXT) | instid1(VALU_DEP_4)
	v_readfirstlane_b32 s6, v24
	v_readfirstlane_b32 s7, v25
	s_delay_alu instid0(VALU_DEP_3)
	v_and_or_b32 v0, 0xffffff1f, v0, v6
	s_clause 0x3
	global_store_b128 v34, v[0:3], s[6:7]
	global_store_b128 v34, v[10:13], s[6:7] offset:16
	global_store_b128 v34, v[14:17], s[6:7] offset:32
	;; [unrolled: 1-line block ×3, first 2 shown]
	s_and_saveexec_b32 s1, s0
	s_cbranch_execz .LBB22_352
; %bb.345:                              ;   in Loop: Header=BB22_280 Depth=1
	s_clause 0x1
	global_load_b64 v[14:15], v7, s[2:3] offset:32 glc
	global_load_b64 v[0:1], v7, s[2:3] offset:40
	v_dual_mov_b32 v12, s4 :: v_dual_mov_b32 v13, s5
	s_waitcnt vmcnt(0)
	v_readfirstlane_b32 s6, v0
	v_readfirstlane_b32 s7, v1
	s_delay_alu instid0(VALU_DEP_1) | instskip(NEXT) | instid1(SALU_CYCLE_1)
	s_and_b64 s[6:7], s[6:7], s[4:5]
	s_mul_i32 s7, s7, 24
	s_mul_hi_u32 s13, s6, 24
	s_mul_i32 s6, s6, 24
	s_add_i32 s13, s13, s7
	v_add_co_u32 v10, vcc_lo, v22, s6
	v_add_co_ci_u32_e32 v11, vcc_lo, s13, v23, vcc_lo
	s_mov_b32 s6, exec_lo
	global_store_b64 v[10:11], v[14:15], off
	s_waitcnt_vscnt null, 0x0
	global_atomic_cmpswap_b64 v[2:3], v7, v[12:15], s[2:3] offset:32 glc
	s_waitcnt vmcnt(0)
	v_cmpx_ne_u64_e64 v[2:3], v[14:15]
	s_cbranch_execz .LBB22_348
; %bb.346:                              ;   in Loop: Header=BB22_280 Depth=1
	s_mov_b32 s7, 0
.LBB22_347:                             ;   Parent Loop BB22_280 Depth=1
                                        ; =>  This Inner Loop Header: Depth=2
	v_dual_mov_b32 v0, s4 :: v_dual_mov_b32 v1, s5
	s_sleep 1
	global_store_b64 v[10:11], v[2:3], off
	s_waitcnt_vscnt null, 0x0
	global_atomic_cmpswap_b64 v[0:1], v7, v[0:3], s[2:3] offset:32 glc
	s_waitcnt vmcnt(0)
	v_cmp_eq_u64_e32 vcc_lo, v[0:1], v[2:3]
	v_dual_mov_b32 v3, v1 :: v_dual_mov_b32 v2, v0
	s_or_b32 s7, vcc_lo, s7
	s_delay_alu instid0(SALU_CYCLE_1)
	s_and_not1_b32 exec_lo, exec_lo, s7
	s_cbranch_execnz .LBB22_347
.LBB22_348:                             ;   in Loop: Header=BB22_280 Depth=1
	s_or_b32 exec_lo, exec_lo, s6
	global_load_b64 v[0:1], v7, s[2:3] offset:16
	s_mov_b32 s7, exec_lo
	s_mov_b32 s6, exec_lo
	v_mbcnt_lo_u32_b32 v2, s7, 0
	s_delay_alu instid0(VALU_DEP_1)
	v_cmpx_eq_u32_e32 0, v2
	s_cbranch_execz .LBB22_350
; %bb.349:                              ;   in Loop: Header=BB22_280 Depth=1
	s_bcnt1_i32_b32 s7, s7
	s_delay_alu instid0(SALU_CYCLE_1)
	v_mov_b32_e32 v6, s7
	s_waitcnt vmcnt(0)
	global_atomic_add_u64 v[0:1], v[6:7], off offset:8
.LBB22_350:                             ;   in Loop: Header=BB22_280 Depth=1
	s_or_b32 exec_lo, exec_lo, s6
	s_waitcnt vmcnt(0)
	global_load_b64 v[2:3], v[0:1], off offset:16
	s_waitcnt vmcnt(0)
	v_cmp_eq_u64_e32 vcc_lo, 0, v[2:3]
	s_cbranch_vccnz .LBB22_352
; %bb.351:                              ;   in Loop: Header=BB22_280 Depth=1
	global_load_b32 v6, v[0:1], off offset:24
	s_waitcnt vmcnt(0)
	v_and_b32_e32 v0, 0xffffff, v6
	s_waitcnt_vscnt null, 0x0
	global_store_b64 v[2:3], v[6:7], off
	v_readfirstlane_b32 m0, v0
	s_sendmsg sendmsg(MSG_INTERRUPT)
.LBB22_352:                             ;   in Loop: Header=BB22_280 Depth=1
	s_or_b32 exec_lo, exec_lo, s1
	v_add_co_u32 v0, vcc_lo, v24, v34
	v_add_co_ci_u32_e32 v1, vcc_lo, 0, v25, vcc_lo
	s_branch .LBB22_356
	.p2align	6
.LBB22_353:                             ;   in Loop: Header=BB22_356 Depth=2
	s_or_b32 exec_lo, exec_lo, s1
	s_delay_alu instid0(VALU_DEP_1) | instskip(NEXT) | instid1(VALU_DEP_1)
	v_readfirstlane_b32 s1, v2
	s_cmp_eq_u32 s1, 0
	s_cbranch_scc1 .LBB22_355
; %bb.354:                              ;   in Loop: Header=BB22_356 Depth=2
	s_sleep 1
	s_cbranch_execnz .LBB22_356
	s_branch .LBB22_358
	.p2align	6
.LBB22_355:                             ;   in Loop: Header=BB22_280 Depth=1
	s_branch .LBB22_358
.LBB22_356:                             ;   Parent Loop BB22_280 Depth=1
                                        ; =>  This Inner Loop Header: Depth=2
	v_mov_b32_e32 v2, 1
	s_and_saveexec_b32 s1, s0
	s_cbranch_execz .LBB22_353
; %bb.357:                              ;   in Loop: Header=BB22_356 Depth=2
	global_load_b32 v2, v[30:31], off offset:20 glc
	s_waitcnt vmcnt(0)
	buffer_gl1_inv
	buffer_gl0_inv
	v_and_b32_e32 v2, 1, v2
	s_branch .LBB22_353
.LBB22_358:                             ;   in Loop: Header=BB22_280 Depth=1
	global_load_b128 v[0:3], v[0:1], off
	s_and_saveexec_b32 s1, s0
	s_cbranch_execz .LBB22_279
; %bb.359:                              ;   in Loop: Header=BB22_280 Depth=1
	s_clause 0x2
	global_load_b64 v[2:3], v7, s[2:3] offset:40
	global_load_b64 v[14:15], v7, s[2:3] offset:24 glc
	global_load_b64 v[12:13], v7, s[2:3]
	s_waitcnt vmcnt(2)
	v_add_co_u32 v6, vcc_lo, v2, 1
	v_add_co_ci_u32_e32 v16, vcc_lo, 0, v3, vcc_lo
	s_delay_alu instid0(VALU_DEP_2) | instskip(NEXT) | instid1(VALU_DEP_2)
	v_add_co_u32 v10, vcc_lo, v6, s4
	v_add_co_ci_u32_e32 v11, vcc_lo, s5, v16, vcc_lo
	s_delay_alu instid0(VALU_DEP_1) | instskip(SKIP_1) | instid1(VALU_DEP_1)
	v_cmp_eq_u64_e32 vcc_lo, 0, v[10:11]
	v_dual_cndmask_b32 v11, v11, v16 :: v_dual_cndmask_b32 v10, v10, v6
	v_and_b32_e32 v3, v11, v3
	s_delay_alu instid0(VALU_DEP_2) | instskip(NEXT) | instid1(VALU_DEP_1)
	v_and_b32_e32 v2, v10, v2
	v_mul_hi_u32 v6, v2, 24
	v_mul_lo_u32 v2, v2, 24
	s_waitcnt vmcnt(0)
	s_delay_alu instid0(VALU_DEP_1) | instskip(SKIP_2) | instid1(VALU_DEP_1)
	v_add_co_u32 v2, vcc_lo, v12, v2
	v_mov_b32_e32 v12, v14
	v_mul_lo_u32 v3, v3, 24
	v_add_nc_u32_e32 v3, v6, v3
	s_delay_alu instid0(VALU_DEP_1)
	v_add_co_ci_u32_e32 v3, vcc_lo, v13, v3, vcc_lo
	v_mov_b32_e32 v13, v15
	global_store_b64 v[2:3], v[14:15], off
	s_waitcnt_vscnt null, 0x0
	global_atomic_cmpswap_b64 v[12:13], v7, v[10:13], s[2:3] offset:24 glc
	s_waitcnt vmcnt(0)
	v_cmp_ne_u64_e32 vcc_lo, v[12:13], v[14:15]
	s_and_b32 exec_lo, exec_lo, vcc_lo
	s_cbranch_execz .LBB22_279
; %bb.360:                              ;   in Loop: Header=BB22_280 Depth=1
	s_mov_b32 s0, 0
.LBB22_361:                             ;   Parent Loop BB22_280 Depth=1
                                        ; =>  This Inner Loop Header: Depth=2
	s_sleep 1
	global_store_b64 v[2:3], v[12:13], off
	s_waitcnt_vscnt null, 0x0
	global_atomic_cmpswap_b64 v[14:15], v7, v[10:13], s[2:3] offset:24 glc
	s_waitcnt vmcnt(0)
	v_cmp_eq_u64_e32 vcc_lo, v[14:15], v[12:13]
	v_dual_mov_b32 v12, v14 :: v_dual_mov_b32 v13, v15
	s_or_b32 s0, vcc_lo, s0
	s_delay_alu instid0(SALU_CYCLE_1)
	s_and_not1_b32 exec_lo, exec_lo, s0
	s_cbranch_execnz .LBB22_361
	s_branch .LBB22_279
.LBB22_362:
	s_or_b32 exec_lo, exec_lo, s11
                                        ; implicit-def: $vgpr34
                                        ; implicit-def: $vgpr35
.LBB22_363:
	s_and_not1_saveexec_b32 s1, s10
	s_cbranch_execz .LBB22_391
; %bb.364:
	v_readfirstlane_b32 s0, v35
	v_mov_b32_e32 v8, 0
	v_mov_b32_e32 v9, 0
	s_delay_alu instid0(VALU_DEP_3) | instskip(NEXT) | instid1(VALU_DEP_1)
	v_cmp_eq_u32_e64 s0, s0, v35
	s_and_saveexec_b32 s4, s0
	s_cbranch_execz .LBB22_370
; %bb.365:
	s_waitcnt vmcnt(0)
	v_mov_b32_e32 v2, 0
	s_mov_b32 s5, exec_lo
	global_load_b64 v[5:6], v2, s[2:3] offset:24 glc
	s_waitcnt vmcnt(0)
	buffer_gl1_inv
	buffer_gl0_inv
	s_clause 0x1
	global_load_b64 v[3:4], v2, s[2:3] offset:40
	global_load_b64 v[7:8], v2, s[2:3]
	s_waitcnt vmcnt(1)
	v_and_b32_e32 v3, v3, v5
	v_and_b32_e32 v4, v4, v6
	s_delay_alu instid0(VALU_DEP_2) | instskip(NEXT) | instid1(VALU_DEP_2)
	v_mul_hi_u32 v9, v3, 24
	v_mul_lo_u32 v4, v4, 24
	v_mul_lo_u32 v3, v3, 24
	s_delay_alu instid0(VALU_DEP_2) | instskip(SKIP_1) | instid1(VALU_DEP_2)
	v_add_nc_u32_e32 v4, v9, v4
	s_waitcnt vmcnt(0)
	v_add_co_u32 v3, vcc_lo, v7, v3
	s_delay_alu instid0(VALU_DEP_2)
	v_add_co_ci_u32_e32 v4, vcc_lo, v8, v4, vcc_lo
	global_load_b64 v[3:4], v[3:4], off glc
	s_waitcnt vmcnt(0)
	global_atomic_cmpswap_b64 v[8:9], v2, v[3:6], s[2:3] offset:24 glc
	s_waitcnt vmcnt(0)
	buffer_gl1_inv
	buffer_gl0_inv
	v_cmpx_ne_u64_e64 v[8:9], v[5:6]
	s_cbranch_execz .LBB22_369
; %bb.366:
	s_mov_b32 s6, 0
	.p2align	6
.LBB22_367:                             ; =>This Inner Loop Header: Depth=1
	s_sleep 1
	s_clause 0x1
	global_load_b64 v[3:4], v2, s[2:3] offset:40
	global_load_b64 v[10:11], v2, s[2:3]
	v_dual_mov_b32 v5, v8 :: v_dual_mov_b32 v6, v9
	s_waitcnt vmcnt(1)
	s_delay_alu instid0(VALU_DEP_1) | instskip(NEXT) | instid1(VALU_DEP_2)
	v_and_b32_e32 v3, v3, v5
	v_and_b32_e32 v4, v4, v6
	s_waitcnt vmcnt(0)
	s_delay_alu instid0(VALU_DEP_2) | instskip(NEXT) | instid1(VALU_DEP_1)
	v_mad_u64_u32 v[7:8], null, v3, 24, v[10:11]
	v_mov_b32_e32 v3, v8
	s_delay_alu instid0(VALU_DEP_1)
	v_mad_u64_u32 v[8:9], null, v4, 24, v[3:4]
	global_load_b64 v[3:4], v[7:8], off glc
	s_waitcnt vmcnt(0)
	global_atomic_cmpswap_b64 v[8:9], v2, v[3:6], s[2:3] offset:24 glc
	s_waitcnt vmcnt(0)
	buffer_gl1_inv
	buffer_gl0_inv
	v_cmp_eq_u64_e32 vcc_lo, v[8:9], v[5:6]
	s_or_b32 s6, vcc_lo, s6
	s_delay_alu instid0(SALU_CYCLE_1)
	s_and_not1_b32 exec_lo, exec_lo, s6
	s_cbranch_execnz .LBB22_367
; %bb.368:
	s_or_b32 exec_lo, exec_lo, s6
.LBB22_369:
	s_delay_alu instid0(SALU_CYCLE_1)
	s_or_b32 exec_lo, exec_lo, s5
.LBB22_370:
	s_delay_alu instid0(SALU_CYCLE_1)
	s_or_b32 exec_lo, exec_lo, s4
	s_waitcnt vmcnt(0)
	v_mov_b32_e32 v2, 0
	v_readfirstlane_b32 s4, v8
	v_readfirstlane_b32 s5, v9
	s_mov_b32 s10, exec_lo
	s_clause 0x1
	global_load_b64 v[10:11], v2, s[2:3] offset:40
	global_load_b128 v[4:7], v2, s[2:3]
	s_waitcnt vmcnt(1)
	v_readfirstlane_b32 s6, v10
	v_readfirstlane_b32 s7, v11
	s_delay_alu instid0(VALU_DEP_1) | instskip(NEXT) | instid1(SALU_CYCLE_1)
	s_and_b64 s[6:7], s[4:5], s[6:7]
	s_mul_i32 s11, s7, 24
	s_mul_hi_u32 s12, s6, 24
	s_mul_i32 s13, s6, 24
	s_add_i32 s12, s12, s11
	s_waitcnt vmcnt(0)
	v_add_co_u32 v8, vcc_lo, v4, s13
	v_add_co_ci_u32_e32 v9, vcc_lo, s12, v5, vcc_lo
	s_and_saveexec_b32 s11, s0
	s_cbranch_execz .LBB22_372
; %bb.371:
	v_dual_mov_b32 v10, s10 :: v_dual_mov_b32 v11, v2
	v_dual_mov_b32 v12, 2 :: v_dual_mov_b32 v13, 1
	global_store_b128 v[8:9], v[10:13], off offset:8
.LBB22_372:
	s_or_b32 exec_lo, exec_lo, s11
	s_lshl_b64 s[6:7], s[6:7], 12
	s_mov_b32 s12, 0
	v_add_co_u32 v6, vcc_lo, v6, s6
	v_add_co_ci_u32_e32 v7, vcc_lo, s7, v7, vcc_lo
	s_mov_b32 s13, s12
	s_delay_alu instid0(VALU_DEP_2)
	v_readfirstlane_b32 s6, v6
	v_add_co_u32 v6, vcc_lo, v6, v34
	s_mov_b32 s14, s12
	s_mov_b32 s15, s12
	v_and_or_b32 v0, 0xffffff1f, v0, 32
	v_dual_mov_b32 v3, v2 :: v_dual_mov_b32 v10, s12
	v_readfirstlane_b32 s7, v7
	v_add_co_ci_u32_e32 v7, vcc_lo, 0, v7, vcc_lo
	v_dual_mov_b32 v11, s13 :: v_dual_mov_b32 v12, s14
	v_mov_b32_e32 v13, s15
	s_clause 0x3
	global_store_b128 v34, v[0:3], s[6:7]
	global_store_b128 v34, v[10:13], s[6:7] offset:16
	global_store_b128 v34, v[10:13], s[6:7] offset:32
	;; [unrolled: 1-line block ×3, first 2 shown]
	s_and_saveexec_b32 s6, s0
	s_cbranch_execz .LBB22_380
; %bb.373:
	v_dual_mov_b32 v10, 0 :: v_dual_mov_b32 v11, s4
	v_mov_b32_e32 v12, s5
	s_clause 0x1
	global_load_b64 v[13:14], v10, s[2:3] offset:32 glc
	global_load_b64 v[0:1], v10, s[2:3] offset:40
	s_waitcnt vmcnt(0)
	v_readfirstlane_b32 s10, v0
	v_readfirstlane_b32 s11, v1
	s_delay_alu instid0(VALU_DEP_1) | instskip(NEXT) | instid1(SALU_CYCLE_1)
	s_and_b64 s[10:11], s[10:11], s[4:5]
	s_mul_i32 s7, s11, 24
	s_mul_hi_u32 s11, s10, 24
	s_mul_i32 s10, s10, 24
	s_add_i32 s11, s11, s7
	v_add_co_u32 v4, vcc_lo, v4, s10
	v_add_co_ci_u32_e32 v5, vcc_lo, s11, v5, vcc_lo
	s_mov_b32 s7, exec_lo
	global_store_b64 v[4:5], v[13:14], off
	s_waitcnt_vscnt null, 0x0
	global_atomic_cmpswap_b64 v[2:3], v10, v[11:14], s[2:3] offset:32 glc
	s_waitcnt vmcnt(0)
	v_cmpx_ne_u64_e64 v[2:3], v[13:14]
	s_cbranch_execz .LBB22_376
; %bb.374:
	s_mov_b32 s10, 0
.LBB22_375:                             ; =>This Inner Loop Header: Depth=1
	v_dual_mov_b32 v0, s4 :: v_dual_mov_b32 v1, s5
	s_sleep 1
	global_store_b64 v[4:5], v[2:3], off
	s_waitcnt_vscnt null, 0x0
	global_atomic_cmpswap_b64 v[0:1], v10, v[0:3], s[2:3] offset:32 glc
	s_waitcnt vmcnt(0)
	v_cmp_eq_u64_e32 vcc_lo, v[0:1], v[2:3]
	v_dual_mov_b32 v3, v1 :: v_dual_mov_b32 v2, v0
	s_or_b32 s10, vcc_lo, s10
	s_delay_alu instid0(SALU_CYCLE_1)
	s_and_not1_b32 exec_lo, exec_lo, s10
	s_cbranch_execnz .LBB22_375
.LBB22_376:
	s_or_b32 exec_lo, exec_lo, s7
	v_mov_b32_e32 v3, 0
	s_mov_b32 s10, exec_lo
	s_mov_b32 s7, exec_lo
	v_mbcnt_lo_u32_b32 v2, s10, 0
	global_load_b64 v[0:1], v3, s[2:3] offset:16
	v_cmpx_eq_u32_e32 0, v2
	s_cbranch_execz .LBB22_378
; %bb.377:
	s_bcnt1_i32_b32 s10, s10
	s_delay_alu instid0(SALU_CYCLE_1)
	v_mov_b32_e32 v2, s10
	s_waitcnt vmcnt(0)
	global_atomic_add_u64 v[0:1], v[2:3], off offset:8
.LBB22_378:
	s_or_b32 exec_lo, exec_lo, s7
	s_waitcnt vmcnt(0)
	global_load_b64 v[2:3], v[0:1], off offset:16
	s_waitcnt vmcnt(0)
	v_cmp_eq_u64_e32 vcc_lo, 0, v[2:3]
	s_cbranch_vccnz .LBB22_380
; %bb.379:
	global_load_b32 v0, v[0:1], off offset:24
	s_waitcnt vmcnt(0)
	v_dual_mov_b32 v1, 0 :: v_dual_and_b32 v4, 0xffffff, v0
	s_waitcnt_vscnt null, 0x0
	global_store_b64 v[2:3], v[0:1], off
	v_readfirstlane_b32 m0, v4
	s_sendmsg sendmsg(MSG_INTERRUPT)
.LBB22_380:
	s_or_b32 exec_lo, exec_lo, s6
	s_branch .LBB22_384
	.p2align	6
.LBB22_381:                             ;   in Loop: Header=BB22_384 Depth=1
	s_or_b32 exec_lo, exec_lo, s6
	s_delay_alu instid0(VALU_DEP_1) | instskip(NEXT) | instid1(VALU_DEP_1)
	v_readfirstlane_b32 s6, v0
	s_cmp_eq_u32 s6, 0
	s_cbranch_scc1 .LBB22_383
; %bb.382:                              ;   in Loop: Header=BB22_384 Depth=1
	s_sleep 1
	s_cbranch_execnz .LBB22_384
	s_branch .LBB22_386
	.p2align	6
.LBB22_383:
	s_branch .LBB22_386
.LBB22_384:                             ; =>This Inner Loop Header: Depth=1
	v_mov_b32_e32 v0, 1
	s_and_saveexec_b32 s6, s0
	s_cbranch_execz .LBB22_381
; %bb.385:                              ;   in Loop: Header=BB22_384 Depth=1
	global_load_b32 v0, v[8:9], off offset:20 glc
	s_waitcnt vmcnt(0)
	buffer_gl1_inv
	buffer_gl0_inv
	v_and_b32_e32 v0, 1, v0
	s_branch .LBB22_381
.LBB22_386:
	global_load_b64 v[0:1], v[6:7], off
	s_and_saveexec_b32 s6, s0
	s_cbranch_execz .LBB22_390
; %bb.387:
	v_mov_b32_e32 v8, 0
	s_clause 0x2
	global_load_b64 v[4:5], v8, s[2:3] offset:40
	global_load_b64 v[9:10], v8, s[2:3] offset:24 glc
	global_load_b64 v[6:7], v8, s[2:3]
	s_waitcnt vmcnt(2)
	v_add_co_u32 v11, vcc_lo, v4, 1
	v_add_co_ci_u32_e32 v12, vcc_lo, 0, v5, vcc_lo
	s_delay_alu instid0(VALU_DEP_2) | instskip(NEXT) | instid1(VALU_DEP_2)
	v_add_co_u32 v2, vcc_lo, v11, s4
	v_add_co_ci_u32_e32 v3, vcc_lo, s5, v12, vcc_lo
	s_delay_alu instid0(VALU_DEP_1) | instskip(SKIP_1) | instid1(VALU_DEP_1)
	v_cmp_eq_u64_e32 vcc_lo, 0, v[2:3]
	v_dual_cndmask_b32 v3, v3, v12 :: v_dual_cndmask_b32 v2, v2, v11
	v_and_b32_e32 v5, v3, v5
	s_delay_alu instid0(VALU_DEP_2) | instskip(NEXT) | instid1(VALU_DEP_2)
	v_and_b32_e32 v4, v2, v4
	v_mul_lo_u32 v5, v5, 24
	s_delay_alu instid0(VALU_DEP_2) | instskip(SKIP_1) | instid1(VALU_DEP_2)
	v_mul_hi_u32 v11, v4, 24
	v_mul_lo_u32 v4, v4, 24
	v_add_nc_u32_e32 v5, v11, v5
	s_waitcnt vmcnt(0)
	s_delay_alu instid0(VALU_DEP_2) | instskip(SKIP_1) | instid1(VALU_DEP_3)
	v_add_co_u32 v6, vcc_lo, v6, v4
	v_mov_b32_e32 v4, v9
	v_add_co_ci_u32_e32 v7, vcc_lo, v7, v5, vcc_lo
	v_mov_b32_e32 v5, v10
	global_store_b64 v[6:7], v[9:10], off
	s_waitcnt_vscnt null, 0x0
	global_atomic_cmpswap_b64 v[4:5], v8, v[2:5], s[2:3] offset:24 glc
	s_waitcnt vmcnt(0)
	v_cmp_ne_u64_e32 vcc_lo, v[4:5], v[9:10]
	s_and_b32 exec_lo, exec_lo, vcc_lo
	s_cbranch_execz .LBB22_390
; %bb.388:
	s_mov_b32 s0, 0
.LBB22_389:                             ; =>This Inner Loop Header: Depth=1
	s_sleep 1
	global_store_b64 v[6:7], v[4:5], off
	s_waitcnt_vscnt null, 0x0
	global_atomic_cmpswap_b64 v[9:10], v8, v[2:5], s[2:3] offset:24 glc
	s_waitcnt vmcnt(0)
	v_cmp_eq_u64_e32 vcc_lo, v[9:10], v[4:5]
	v_dual_mov_b32 v4, v9 :: v_dual_mov_b32 v5, v10
	s_or_b32 s0, vcc_lo, s0
	s_delay_alu instid0(SALU_CYCLE_1)
	s_and_not1_b32 exec_lo, exec_lo, s0
	s_cbranch_execnz .LBB22_389
.LBB22_390:
	s_or_b32 exec_lo, exec_lo, s6
.LBB22_391:
	s_delay_alu instid0(SALU_CYCLE_1)
	s_or_b32 exec_lo, exec_lo, s1
	s_getpc_b64 s[0:1]
	s_add_u32 s0, s0, .str.1@rel32@lo+4
	s_addc_u32 s1, s1, .str.1@rel32@hi+12
	s_getpc_b64 s[2:3]
	s_add_u32 s2, s2, .str.1@rel32@lo+22
	s_addc_u32 s3, s3, .str.1@rel32@hi+30
	s_sub_i32 s4, s2, s0
	s_getpc_b64 s[2:3]
	s_add_u32 s2, s2, __ockl_fprintf_append_string_n@rel32@lo+4
	s_addc_u32 s3, s3, __ockl_fprintf_append_string_n@rel32@hi+12
	s_ashr_i32 s5, s4, 31
	s_waitcnt vmcnt(0)
	v_dual_mov_b32 v2, s0 :: v_dual_mov_b32 v3, s1
	v_dual_mov_b32 v4, s4 :: v_dual_mov_b32 v5, s5
	v_mov_b32_e32 v6, 1
	s_swappc_b64 s[30:31], s[2:3]
	s_trap 2
	s_sendmsg_rtn_b32 s0, sendmsg(MSG_RTN_GET_DOORBELL)
	s_mov_b32 ttmp2, m0
	s_waitcnt lgkmcnt(0)
	s_and_b32 s0, s0, 0x3ff
	s_delay_alu instid0(SALU_CYCLE_1) | instskip(NEXT) | instid1(SALU_CYCLE_1)
	s_bitset1_b32 s0, 10
	s_mov_b32 m0, s0
	s_sendmsg sendmsg(MSG_INTERRUPT)
	s_mov_b32 m0, ttmp2
.LBB22_392:                             ; =>This Inner Loop Header: Depth=1
	s_sethalt 5
	s_branch .LBB22_392
.Lfunc_end22:
	.size	__assert_fail, .Lfunc_end22-__assert_fail
                                        ; -- End function
	.section	.AMDGPU.csdata,"",@progbits
; Function info:
; codeLenInByte = 16148
; NumSgprs: 36
; NumVgprs: 41
; ScratchSize: 64
; MemoryBound: 0
	.section	.text._ZN4vllm3moe7moeTopKILi256EiEEvPKfPKbPfPT0_Piiiii,"axG",@progbits,_ZN4vllm3moe7moeTopKILi256EiEEvPKfPKbPfPT0_Piiiii,comdat
	.protected	_ZN4vllm3moe7moeTopKILi256EiEEvPKfPKbPfPT0_Piiiii ; -- Begin function _ZN4vllm3moe7moeTopKILi256EiEEvPKfPKbPfPT0_Piiiii
	.globl	_ZN4vllm3moe7moeTopKILi256EiEEvPKfPKbPfPT0_Piiiii
	.p2align	8
	.type	_ZN4vllm3moe7moeTopKILi256EiEEvPKfPKbPfPT0_Piiiii,@function
_ZN4vllm3moe7moeTopKILi256EiEEvPKfPKbPfPT0_Piiiii: ; @_ZN4vllm3moe7moeTopKILi256EiEEvPKfPKbPfPT0_Piiiii
; %bb.0:
	s_load_b256 s[16:23], s[0:1], 0x0
	s_mov_b32 s32, 0
	s_waitcnt lgkmcnt(0)
	s_cmp_eq_u64 s[18:19], 0
	s_cbranch_scc1 .LBB23_3
; %bb.1:
	v_mov_b32_e32 v1, 0
	s_ashr_i32 s3, s15, 31
	s_add_u32 s2, s18, s15
	s_addc_u32 s3, s19, s3
	global_load_u8 v1, v1, s[2:3]
	s_waitcnt vmcnt(0)
	v_readfirstlane_b32 s2, v1
	s_delay_alu instid0(VALU_DEP_1) | instskip(SKIP_1) | instid1(SALU_CYCLE_1)
	s_bitcmp1_b32 s2, 0
	s_cselect_b32 s2, -1, 0
	s_xor_b32 s14, s2, -1
	s_load_b128 s[8:11], s[0:1], 0x28
	s_waitcnt lgkmcnt(0)
	s_cmp_lt_i32 s9, 1
	s_cbranch_scc0 .LBB23_4
.LBB23_2:
	s_nop 0
	s_sendmsg sendmsg(MSG_DEALLOC_VGPRS)
	s_endpgm
.LBB23_3:
	s_mov_b32 s14, -1
	s_load_b128 s[8:11], s[0:1], 0x28
	s_waitcnt lgkmcnt(0)
	s_cmp_lt_i32 s9, 1
	s_cbranch_scc1 .LBB23_2
.LBB23_4:
	v_mbcnt_lo_u32_b32 v6, -1, 0
	s_clause 0x1
	s_load_b64 s[12:13], s[0:1], 0x20
	s_load_b32 s26, s[0:1], 0x38
	v_lshrrev_b32_e32 v2, 2, v0
	s_mul_i32 s18, s15, s9
	v_cmp_gt_i32_e64 s2, s8, v0
	v_and_b32_e32 v3, 7, v6
	s_ashr_i32 s19, s18, 31
	v_dual_mov_b32 v1, 0x7c :: v_dual_and_b32 v2, 56, v2
	v_cmp_eq_u32_e64 s3, 0, v6
	s_delay_alu instid0(VALU_DEP_3)
	v_cmp_gt_u32_e32 vcc_lo, 6, v3
	v_cmp_gt_u32_e64 s4, 32, v0
	v_cmp_eq_u32_e64 s5, 0, v0
	s_lshl_b64 s[6:7], s[18:19], 2
	s_mul_i32 s27, s15, s8
	v_cndmask_b32_e64 v4, 0, 1, vcc_lo
	v_cmp_gt_u32_e32 vcc_lo, 4, v3
	s_add_u32 s24, s22, s6
	s_mov_b32 s28, 0
	s_addc_u32 s25, s23, s7
	v_lshlrev_b32_e32 v8, 1, v4
	v_cndmask_b32_e64 v5, 0, 1, vcc_lo
	v_cmp_ne_u32_e32 vcc_lo, 7, v3
	v_lshlrev_b32_e32 v3, 3, v3
	s_mov_b32 s29, 0
                                        ; implicit-def: $sgpr19
                                        ; implicit-def: $sgpr30
	s_delay_alu instid0(VALU_DEP_3) | instskip(SKIP_1) | instid1(VALU_DEP_1)
	v_lshlrev_b32_e32 v9, 2, v5
	v_add_co_ci_u32_e32 v7, vcc_lo, 0, v6, vcc_lo
	v_dual_mov_b32 v7, 0 :: v_dual_lshlrev_b32 v4, 2, v7
	v_add_lshl_u32 v5, v8, v6, 2
	s_delay_alu instid0(VALU_DEP_4)
	v_add_lshl_u32 v6, v9, v6, 2
	s_branch .LBB23_6
.LBB23_5:                               ;   in Loop: Header=BB23_6 Depth=1
	s_or_b32 exec_lo, exec_lo, s6
	s_delay_alu instid0(SALU_CYCLE_1) | instskip(NEXT) | instid1(SALU_CYCLE_1)
	s_and_b32 s6, exec_lo, s31
	s_or_b32 s28, s6, s28
	s_and_not1_b32 s6, s19, exec_lo
	s_and_b32 s7, s30, exec_lo
	s_delay_alu instid0(SALU_CYCLE_1)
	s_or_b32 s19, s6, s7
	s_and_not1_b32 exec_lo, exec_lo, s28
	s_cbranch_execz .LBB23_25
.LBB23_6:                               ; =>This Loop Header: Depth=1
                                        ;     Child Loop BB23_9 Depth 2
                                        ;       Child Loop BB23_11 Depth 3
	v_dual_mov_b32 v8, -1.0 :: v_dual_mov_b32 v9, 0
	s_and_saveexec_b32 s31, s2
	s_cbranch_execz .LBB23_15
; %bb.7:                                ;   in Loop: Header=BB23_6 Depth=1
	v_dual_mov_b32 v8, -1.0 :: v_dual_mov_b32 v9, 0
	v_mov_b32_e32 v10, v0
	s_cmp_lg_u32 s29, 0
	s_mov_b32 s34, 0
	s_cselect_b32 s33, -1, 0
	s_set_inst_prefetch_distance 0x1
	s_branch .LBB23_9
	.p2align	6
.LBB23_8:                               ;   in Loop: Header=BB23_9 Depth=2
	s_or_b32 exec_lo, exec_lo, s7
	v_add_nc_u32_e32 v10, 0x100, v10
	s_delay_alu instid0(VALU_DEP_1) | instskip(SKIP_1) | instid1(SALU_CYCLE_1)
	v_cmp_le_i32_e32 vcc_lo, s8, v10
	s_or_b32 s34, vcc_lo, s34
	s_and_not1_b32 exec_lo, exec_lo, s34
	s_cbranch_execz .LBB23_14
.LBB23_9:                               ;   Parent Loop BB23_6 Depth=1
                                        ; =>  This Loop Header: Depth=2
                                        ;       Child Loop BB23_11 Depth 3
	v_add_nc_u32_e32 v11, s27, v10
	s_delay_alu instid0(VALU_DEP_1) | instskip(NEXT) | instid1(VALU_DEP_1)
	v_ashrrev_i32_e32 v12, 31, v11
	v_lshlrev_b64 v[11:12], 2, v[11:12]
	s_delay_alu instid0(VALU_DEP_1) | instskip(NEXT) | instid1(VALU_DEP_2)
	v_add_co_u32 v11, vcc_lo, s16, v11
	v_add_co_ci_u32_e32 v12, vcc_lo, s17, v12, vcc_lo
	s_and_not1_b32 vcc_lo, exec_lo, s33
	global_load_b32 v11, v[11:12], off
	v_mov_b32_e32 v12, v10
	s_cbranch_vccnz .LBB23_12
; %bb.10:                               ;   in Loop: Header=BB23_9 Depth=2
	s_mov_b32 s35, 0
	s_mov_b64 s[6:7], s[24:25]
.LBB23_11:                              ;   Parent Loop BB23_6 Depth=1
                                        ;     Parent Loop BB23_9 Depth=2
                                        ; =>    This Inner Loop Header: Depth=3
	global_load_b32 v13, v7, s[6:7]
	s_add_i32 s35, s35, 1
	s_add_u32 s6, s6, 4
	s_addc_u32 s7, s7, 0
	s_cmp_ge_u32 s35, s29
	s_waitcnt vmcnt(0)
	v_cmp_eq_u32_e32 vcc_lo, v13, v10
	v_dual_cndmask_b32 v12, v12, v9 :: v_dual_cndmask_b32 v11, v11, v8
	s_cbranch_scc0 .LBB23_11
.LBB23_12:                              ;   in Loop: Header=BB23_9 Depth=2
	s_mov_b32 s7, exec_lo
	s_waitcnt vmcnt(0)
	s_delay_alu instid0(VALU_DEP_1)
	v_cmpx_ngt_f32_e32 v8, v11
	s_cbranch_execz .LBB23_8
; %bb.13:                               ;   in Loop: Header=BB23_9 Depth=2
	v_cmp_eq_f32_e32 vcc_lo, v11, v8
	v_cmp_lt_i32_e64 s6, v9, v12
	s_delay_alu instid0(VALU_DEP_1)
	s_and_b32 vcc_lo, vcc_lo, s6
	v_dual_cndmask_b32 v8, v11, v8 :: v_dual_cndmask_b32 v9, v12, v9
	s_branch .LBB23_8
.LBB23_14:                              ;   in Loop: Header=BB23_6 Depth=1
	s_set_inst_prefetch_distance 0x2
	s_or_b32 exec_lo, exec_lo, s34
.LBB23_15:                              ;   in Loop: Header=BB23_6 Depth=1
	s_delay_alu instid0(SALU_CYCLE_1) | instskip(NEXT) | instid1(VALU_DEP_1)
	s_or_b32 exec_lo, exec_lo, s31
	v_mov_b32_dpp v10, v8 quad_perm:[1,0,3,2] row_mask:0xf bank_mask:0xf
	v_mov_b32_dpp v11, v9 quad_perm:[1,0,3,2] row_mask:0xf bank_mask:0xf
	s_delay_alu instid0(VALU_DEP_2) | instskip(NEXT) | instid1(VALU_DEP_2)
	v_cmp_eq_f32_e32 vcc_lo, v8, v10
	v_cmp_lt_i32_e64 s6, v9, v11
	s_delay_alu instid0(VALU_DEP_1) | instskip(SKIP_2) | instid1(VALU_DEP_2)
	s_and_b32 vcc_lo, vcc_lo, s6
	v_cmp_gt_f32_e64 s6, v8, v10
	v_cndmask_b32_e32 v12, v10, v8, vcc_lo
	s_or_b32 vcc_lo, s6, vcc_lo
	v_cndmask_b32_e32 v9, v11, v9, vcc_lo
	s_delay_alu instid0(VALU_DEP_2) | instskip(NEXT) | instid1(VALU_DEP_2)
	v_cndmask_b32_e64 v8, v12, v8, s6
	v_mov_b32_dpp v11, v9 quad_perm:[2,3,0,1] row_mask:0xf bank_mask:0xf
	s_delay_alu instid0(VALU_DEP_2) | instskip(NEXT) | instid1(VALU_DEP_2)
	v_mov_b32_dpp v10, v8 quad_perm:[2,3,0,1] row_mask:0xf bank_mask:0xf
	v_cmp_lt_i32_e64 s6, v9, v11
	s_delay_alu instid0(VALU_DEP_2) | instskip(NEXT) | instid1(VALU_DEP_2)
	v_cmp_eq_f32_e32 vcc_lo, v8, v10
	s_and_b32 vcc_lo, vcc_lo, s6
	v_cmp_gt_f32_e64 s6, v8, v10
	v_cndmask_b32_e32 v12, v10, v8, vcc_lo
	s_delay_alu instid0(VALU_DEP_2) | instskip(SKIP_1) | instid1(VALU_DEP_2)
	s_or_b32 vcc_lo, s6, vcc_lo
	v_cndmask_b32_e32 v9, v11, v9, vcc_lo
	v_cndmask_b32_e64 v8, v12, v8, s6
	s_delay_alu instid0(VALU_DEP_2) | instskip(NEXT) | instid1(VALU_DEP_2)
	v_mov_b32_dpp v11, v9 row_ror:4 row_mask:0xf bank_mask:0xf
	v_mov_b32_dpp v10, v8 row_ror:4 row_mask:0xf bank_mask:0xf
	s_delay_alu instid0(VALU_DEP_2) | instskip(NEXT) | instid1(VALU_DEP_2)
	v_cmp_lt_i32_e64 s6, v9, v11
	v_cmp_eq_f32_e32 vcc_lo, v8, v10
	s_delay_alu instid0(VALU_DEP_2) | instskip(SKIP_2) | instid1(VALU_DEP_2)
	s_and_b32 vcc_lo, vcc_lo, s6
	v_cmp_gt_f32_e64 s6, v8, v10
	v_cndmask_b32_e32 v12, v10, v8, vcc_lo
	s_or_b32 vcc_lo, s6, vcc_lo
	v_cndmask_b32_e32 v9, v11, v9, vcc_lo
	s_delay_alu instid0(VALU_DEP_2) | instskip(NEXT) | instid1(VALU_DEP_2)
	v_cndmask_b32_e64 v8, v12, v8, s6
	v_mov_b32_dpp v11, v9 row_ror:8 row_mask:0xf bank_mask:0xf
	s_delay_alu instid0(VALU_DEP_2) | instskip(NEXT) | instid1(VALU_DEP_2)
	v_mov_b32_dpp v10, v8 row_ror:8 row_mask:0xf bank_mask:0xf
	v_cmp_lt_i32_e64 s6, v9, v11
	s_delay_alu instid0(VALU_DEP_2) | instskip(NEXT) | instid1(VALU_DEP_2)
	v_cmp_eq_f32_e32 vcc_lo, v8, v10
	s_and_b32 vcc_lo, vcc_lo, s6
	v_cmp_gt_f32_e64 s6, v8, v10
	v_cndmask_b32_e32 v12, v10, v8, vcc_lo
	s_delay_alu instid0(VALU_DEP_2) | instskip(SKIP_1) | instid1(VALU_DEP_2)
	s_or_b32 vcc_lo, s6, vcc_lo
	v_cndmask_b32_e32 v9, v11, v9, vcc_lo
	v_cndmask_b32_e64 v8, v12, v8, s6
	ds_swizzle_b32 v11, v9 offset:swizzle(BROADCAST,32,15)
	ds_swizzle_b32 v10, v8 offset:swizzle(BROADCAST,32,15)
	s_waitcnt lgkmcnt(0)
	v_cmp_lt_i32_e64 s6, v9, v11
	v_cmp_eq_f32_e32 vcc_lo, v8, v10
	s_delay_alu instid0(VALU_DEP_2) | instskip(SKIP_2) | instid1(VALU_DEP_2)
	s_and_b32 vcc_lo, vcc_lo, s6
	v_cmp_gt_f32_e64 s6, v8, v10
	v_cndmask_b32_e32 v12, v10, v8, vcc_lo
	s_or_b32 vcc_lo, s6, vcc_lo
	v_cndmask_b32_e32 v9, v11, v9, vcc_lo
	s_delay_alu instid0(VALU_DEP_2)
	v_cndmask_b32_e64 v8, v12, v8, s6
	ds_bpermute_b32 v9, v1, v9
	ds_bpermute_b32 v8, v1, v8
	s_and_saveexec_b32 s6, s3
	s_cbranch_execz .LBB23_17
; %bb.16:                               ;   in Loop: Header=BB23_6 Depth=1
	s_waitcnt lgkmcnt(0)
	ds_store_2addr_b32 v2, v9, v8 offset1:1
.LBB23_17:                              ;   in Loop: Header=BB23_6 Depth=1
	s_or_b32 exec_lo, exec_lo, s6
	s_waitcnt lgkmcnt(0)
	s_waitcnt_vscnt null, 0x0
	s_barrier
	buffer_gl0_inv
	s_and_saveexec_b32 s31, s4
	s_cbranch_execz .LBB23_19
; %bb.18:                               ;   in Loop: Header=BB23_6 Depth=1
	ds_load_2addr_b32 v[8:9], v3 offset1:1
	s_waitcnt lgkmcnt(0)
	ds_bpermute_b32 v10, v4, v9
	ds_bpermute_b32 v11, v4, v8
	s_waitcnt lgkmcnt(1)
	v_cmp_eq_f32_e32 vcc_lo, v9, v10
	s_waitcnt lgkmcnt(0)
	v_cmp_lt_i32_e64 s6, v11, v8
	v_cmp_lt_f32_e64 s7, v9, v10
	s_delay_alu instid0(VALU_DEP_2)
	s_and_b32 s6, vcc_lo, s6
	s_delay_alu instid0(VALU_DEP_1) | instid1(SALU_CYCLE_1)
	s_or_b32 vcc_lo, s7, s6
	v_dual_cndmask_b32 v9, v9, v10 :: v_dual_cndmask_b32 v8, v8, v11
	ds_bpermute_b32 v10, v5, v9
	ds_bpermute_b32 v11, v5, v8
	s_waitcnt lgkmcnt(1)
	v_cmp_eq_f32_e32 vcc_lo, v9, v10
	s_waitcnt lgkmcnt(0)
	v_cmp_lt_i32_e64 s6, v11, v8
	v_cmp_lt_f32_e64 s7, v9, v10
	s_delay_alu instid0(VALU_DEP_2)
	s_and_b32 s6, vcc_lo, s6
	s_delay_alu instid0(VALU_DEP_1) | instid1(SALU_CYCLE_1)
	s_or_b32 vcc_lo, s7, s6
	v_dual_cndmask_b32 v9, v9, v10 :: v_dual_cndmask_b32 v10, v8, v11
	;; [unrolled: 12-line block ×3, first 2 shown]
.LBB23_19:                              ;   in Loop: Header=BB23_6 Depth=1
	s_or_b32 exec_lo, exec_lo, s31
	s_mov_b32 s31, -1
	s_mov_b32 s7, -1
                                        ; implicit-def: $sgpr6
	s_and_saveexec_b32 s33, s5
	s_cbranch_execz .LBB23_23
; %bb.20:                               ;   in Loop: Header=BB23_6 Depth=1
	v_cmp_le_i32_e32 vcc_lo, s10, v9
	v_cmp_gt_i32_e64 s6, s11, v9
	s_add_i32 s34, s29, s18
	v_subrev_nc_u32_e32 v9, s10, v9
	s_ashr_i32 s35, s34, 31
	s_delay_alu instid0(VALU_DEP_2)
	s_and_b32 s36, vcc_lo, s6
	s_lshl_b64 s[6:7], s[34:35], 2
	s_and_b32 vcc_lo, s14, s36
	s_add_u32 s36, s20, s6
	v_cndmask_b32_e32 v9, s8, v9, vcc_lo
	s_addc_u32 s37, s21, s7
	s_add_u32 s38, s22, s6
	s_mov_b32 s34, 0
	s_mov_b32 s35, exec_lo
	s_addc_u32 s39, s23, s7
	s_clause 0x1
	global_store_b32 v7, v8, s[36:37]
	global_store_b32 v7, v9, s[38:39]
	v_cmpx_lt_i32_e32 -1, v9
	s_cbranch_execz .LBB23_22
; %bb.21:                               ;   in Loop: Header=BB23_6 Depth=1
	s_mul_i32 s36, s29, s26
	s_mov_b32 s34, exec_lo
	s_add_i32 s36, s36, s15
	s_add_u32 s6, s12, s6
	v_mov_b32_e32 v8, s36
	s_addc_u32 s7, s13, s7
	global_store_b32 v7, v8, s[6:7]
.LBB23_22:                              ;   in Loop: Header=BB23_6 Depth=1
	s_or_b32 exec_lo, exec_lo, s35
	s_mov_b32 s6, -1
	s_or_not1_b32 s7, s34, exec_lo
.LBB23_23:                              ;   in Loop: Header=BB23_6 Depth=1
	s_or_b32 exec_lo, exec_lo, s33
	s_delay_alu instid0(SALU_CYCLE_1) | instskip(SKIP_1) | instid1(SALU_CYCLE_1)
	s_and_not1_b32 s30, s30, exec_lo
	s_and_b32 s6, s6, exec_lo
	s_or_b32 s30, s30, s6
	s_and_saveexec_b32 s6, s7
	s_cbranch_execz .LBB23_5
; %bb.24:                               ;   in Loop: Header=BB23_6 Depth=1
	s_add_i32 s29, s29, 1
	s_waitcnt_vscnt null, 0x0
	s_cmp_eq_u32 s29, s9
	s_barrier
	s_cselect_b32 s7, -1, 0
	s_and_not1_b32 s30, s30, exec_lo
	s_or_not1_b32 s31, s7, exec_lo
	buffer_gl0_inv
	s_branch .LBB23_5
.LBB23_25:
	s_or_b32 exec_lo, exec_lo, s28
	s_and_saveexec_b32 s2, s19
	s_delay_alu instid0(SALU_CYCLE_1)
	s_xor_b32 s2, exec_lo, s2
	s_cbranch_execz .LBB23_2
; %bb.26:
	s_add_u32 s8, s0, 56
	s_addc_u32 s9, s1, 0
	s_getpc_b64 s[0:1]
	s_add_u32 s0, s0, __PRETTY_FUNCTION__._ZN4vllm3moe7moeTopKILi256EiEEvPKfPKbPfPT0_Piiiii@rel32@lo+4
	s_addc_u32 s1, s1, __PRETTY_FUNCTION__._ZN4vllm3moe7moeTopKILi256EiEEvPKfPKbPfPT0_Piiiii@rel32@hi+12
	s_delay_alu instid0(SALU_CYCLE_1) | instskip(SKIP_3) | instid1(SALU_CYCLE_1)
	v_dual_mov_b32 v0, s0 :: v_dual_mov_b32 v1, s1
	s_getpc_b64 s[2:3]
	s_add_u32 s2, s2, __assert_fail@rel32@lo+4
	s_addc_u32 s3, s3, __assert_fail@rel32@hi+12
	s_swappc_b64 s[30:31], s[2:3]
	; divergent unreachable
	s_endpgm
	.section	.rodata,"a",@progbits
	.p2align	6, 0x0
	.amdhsa_kernel _ZN4vllm3moe7moeTopKILi256EiEEvPKfPKbPfPT0_Piiiii
		.amdhsa_group_segment_fixed_size 64
		.amdhsa_private_segment_fixed_size 64
		.amdhsa_kernarg_size 312
		.amdhsa_user_sgpr_count 15
		.amdhsa_user_sgpr_dispatch_ptr 0
		.amdhsa_user_sgpr_queue_ptr 0
		.amdhsa_user_sgpr_kernarg_segment_ptr 1
		.amdhsa_user_sgpr_dispatch_id 0
		.amdhsa_user_sgpr_private_segment_size 0
		.amdhsa_wavefront_size32 1
		.amdhsa_uses_dynamic_stack 0
		.amdhsa_enable_private_segment 1
		.amdhsa_system_sgpr_workgroup_id_x 1
		.amdhsa_system_sgpr_workgroup_id_y 0
		.amdhsa_system_sgpr_workgroup_id_z 0
		.amdhsa_system_sgpr_workgroup_info 0
		.amdhsa_system_vgpr_workitem_id 0
		.amdhsa_next_free_vgpr 41
		.amdhsa_next_free_sgpr 40
		.amdhsa_reserve_vcc 1
		.amdhsa_float_round_mode_32 0
		.amdhsa_float_round_mode_16_64 0
		.amdhsa_float_denorm_mode_32 3
		.amdhsa_float_denorm_mode_16_64 3
		.amdhsa_dx10_clamp 1
		.amdhsa_ieee_mode 1
		.amdhsa_fp16_overflow 0
		.amdhsa_workgroup_processor_mode 1
		.amdhsa_memory_ordered 1
		.amdhsa_forward_progress 0
		.amdhsa_shared_vgpr_count 0
		.amdhsa_exception_fp_ieee_invalid_op 0
		.amdhsa_exception_fp_denorm_src 0
		.amdhsa_exception_fp_ieee_div_zero 0
		.amdhsa_exception_fp_ieee_overflow 0
		.amdhsa_exception_fp_ieee_underflow 0
		.amdhsa_exception_fp_ieee_inexact 0
		.amdhsa_exception_int_div_zero 0
	.end_amdhsa_kernel
	.section	.text._ZN4vllm3moe7moeTopKILi256EiEEvPKfPKbPfPT0_Piiiii,"axG",@progbits,_ZN4vllm3moe7moeTopKILi256EiEEvPKfPKbPfPT0_Piiiii,comdat
.Lfunc_end23:
	.size	_ZN4vllm3moe7moeTopKILi256EiEEvPKfPKbPfPT0_Piiiii, .Lfunc_end23-_ZN4vllm3moe7moeTopKILi256EiEEvPKfPKbPfPT0_Piiiii
                                        ; -- End function
	.section	.AMDGPU.csdata,"",@progbits
; Kernel info:
; codeLenInByte = 1584
; NumSgprs: 42
; NumVgprs: 41
; ScratchSize: 64
; MemoryBound: 0
; FloatMode: 240
; IeeeMode: 1
; LDSByteSize: 64 bytes/workgroup (compile time only)
; SGPRBlocks: 5
; VGPRBlocks: 5
; NumSGPRsForWavesPerEU: 42
; NumVGPRsForWavesPerEU: 41
; Occupancy: 16
; WaveLimiterHint : 1
; COMPUTE_PGM_RSRC2:SCRATCH_EN: 1
; COMPUTE_PGM_RSRC2:USER_SGPR: 15
; COMPUTE_PGM_RSRC2:TRAP_HANDLER: 0
; COMPUTE_PGM_RSRC2:TGID_X_EN: 1
; COMPUTE_PGM_RSRC2:TGID_Y_EN: 0
; COMPUTE_PGM_RSRC2:TGID_Z_EN: 0
; COMPUTE_PGM_RSRC2:TIDIG_COMP_CNT: 0
	.section	.text._ZN4vllm3moe17topkGatingSoftmaxILi1ELi1ELi4ELi4ELi64EjEEvPKfPKbPfiPT4_Piiii,"axG",@progbits,_ZN4vllm3moe17topkGatingSoftmaxILi1ELi1ELi4ELi4ELi64EjEEvPKfPKbPfiPT4_Piiii,comdat
	.protected	_ZN4vllm3moe17topkGatingSoftmaxILi1ELi1ELi4ELi4ELi64EjEEvPKfPKbPfiPT4_Piiii ; -- Begin function _ZN4vllm3moe17topkGatingSoftmaxILi1ELi1ELi4ELi4ELi64EjEEvPKfPKbPfiPT4_Piiii
	.globl	_ZN4vllm3moe17topkGatingSoftmaxILi1ELi1ELi4ELi4ELi64EjEEvPKfPKbPfiPT4_Piiii
	.p2align	8
	.type	_ZN4vllm3moe17topkGatingSoftmaxILi1ELi1ELi4ELi4ELi64EjEEvPKfPKbPfiPT4_Piiii,@function
_ZN4vllm3moe17topkGatingSoftmaxILi1ELi1ELi4ELi4ELi64EjEEvPKfPKbPfiPT4_Piiii: ; @_ZN4vllm3moe17topkGatingSoftmaxILi1ELi1ELi4ELi4ELi64EjEEvPKfPKbPfiPT4_Piiii
; %bb.0:
	s_load_b32 s2, s[0:1], 0x18
	v_bfe_u32 v1, v0, 10, 10
	v_and_b32_e32 v0, 0x3ff, v0
	s_lshl_b32 s3, s15, 8
	s_delay_alu instid0(VALU_DEP_2) | instskip(NEXT) | instid1(VALU_DEP_1)
	v_lshlrev_b32_e32 v1, 6, v1
	v_add3_u32 v0, v1, v0, s3
	s_mov_b32 s3, exec_lo
	s_waitcnt lgkmcnt(0)
	s_delay_alu instid0(VALU_DEP_1)
	v_cmpx_gt_i32_e64 s2, v0
	s_cbranch_execz .LBB24_6
; %bb.1:
	s_load_b128 s[8:11], s[0:1], 0x0
	v_ashrrev_i32_e32 v1, 31, v0
	s_waitcnt lgkmcnt(0)
	s_cmp_eq_u64 s[10:11], 0
	s_cbranch_scc1 .LBB24_3
; %bb.2:
	v_add_co_u32 v2, vcc_lo, s10, v0
	v_add_co_ci_u32_e32 v3, vcc_lo, s11, v1, vcc_lo
	global_load_u8 v2, v[2:3], off
	s_waitcnt vmcnt(0)
	v_and_b32_e32 v2, 1, v2
	s_delay_alu instid0(VALU_DEP_1) | instskip(SKIP_1) | instid1(SALU_CYCLE_1)
	v_cmp_eq_u32_e32 vcc_lo, 1, v2
	s_xor_b32 s3, vcc_lo, -1
	s_or_not1_b32 s3, s3, exec_lo
	s_load_b128 s[4:7], s[0:1], 0x30
	s_waitcnt lgkmcnt(0)
	s_cmp_lt_i32 s4, 1
	s_cbranch_scc0 .LBB24_4
	s_branch .LBB24_6
.LBB24_3:
	s_mov_b32 s3, -1
	s_load_b128 s[4:7], s[0:1], 0x30
	s_waitcnt lgkmcnt(0)
	s_cmp_lt_i32 s4, 1
	s_cbranch_scc1 .LBB24_6
.LBB24_4:
	v_lshlrev_b64 v[1:2], 2, v[0:1]
	s_load_b64 s[12:13], s[0:1], 0x10
	s_cmp_lt_i32 s5, 1
	s_delay_alu instid0(VALU_DEP_1) | instskip(NEXT) | instid1(VALU_DEP_2)
	v_add_co_u32 v1, vcc_lo, s8, v1
	v_add_co_ci_u32_e32 v2, vcc_lo, s9, v2, vcc_lo
	s_load_b128 s[8:11], s[0:1], 0x20
	s_cselect_b32 s0, -1, 0
	s_cmp_gt_i32 s6, 0
	global_load_b32 v1, v[1:2], off
	s_cselect_b32 s1, -1, 0
	s_sub_i32 s5, 0, s5
	s_and_b32 s0, s0, s1
	s_delay_alu instid0(SALU_CYCLE_1) | instskip(SKIP_2) | instid1(VALU_DEP_1)
	s_and_b32 s0, s3, s0
	s_waitcnt vmcnt(0)
	v_sub_f32_e32 v1, v1, v1
	v_mul_f32_e32 v2, 0x3fb8aa3b, v1
	s_delay_alu instid0(VALU_DEP_1) | instskip(SKIP_1) | instid1(VALU_DEP_1)
	v_fma_f32 v3, 0x3fb8aa3b, v1, -v2
	v_rndne_f32_e32 v4, v2
	v_sub_f32_e32 v2, v2, v4
	v_cmp_ngt_f32_e32 vcc_lo, 0xc2ce8ed0, v1
	s_delay_alu instid0(VALU_DEP_4) | instskip(NEXT) | instid1(VALU_DEP_1)
	v_fmamk_f32 v3, v1, 0x32a5705f, v3
	v_add_f32_e32 v2, v2, v3
	v_cvt_i32_f32_e32 v3, v4
	s_delay_alu instid0(VALU_DEP_2) | instskip(SKIP_2) | instid1(VALU_DEP_1)
	v_exp_f32_e32 v2, v2
	s_waitcnt_depctr 0xfff
	v_ldexp_f32 v2, v2, v3
	v_cndmask_b32_e32 v2, 0, v2, vcc_lo
	v_cmp_nlt_f32_e32 vcc_lo, 0x42b17218, v1
	s_delay_alu instid0(VALU_DEP_2) | instskip(NEXT) | instid1(VALU_DEP_1)
	v_cndmask_b32_e32 v8, 0x7f800000, v2, vcc_lo
	v_div_scale_f32 v3, null, v8, v8, 1.0
	v_div_scale_f32 v7, vcc_lo, 1.0, v8, 1.0
	s_delay_alu instid0(VALU_DEP_2) | instskip(SKIP_2) | instid1(VALU_DEP_1)
	v_rcp_f32_e32 v4, v3
	s_waitcnt_depctr 0xfff
	v_fma_f32 v1, -v3, v4, 1.0
	v_fmac_f32_e32 v4, v1, v4
	v_mul_lo_u32 v1, v0, s4
	s_delay_alu instid0(VALU_DEP_2) | instskip(NEXT) | instid1(VALU_DEP_2)
	v_mul_f32_e32 v9, v7, v4
	v_ashrrev_i32_e32 v2, 31, v1
	s_delay_alu instid0(VALU_DEP_2) | instskip(NEXT) | instid1(VALU_DEP_1)
	v_fma_f32 v5, -v3, v9, v7
	v_fmac_f32_e32 v9, v5, v4
	s_delay_alu instid0(VALU_DEP_3) | instskip(NEXT) | instid1(VALU_DEP_2)
	v_lshlrev_b64 v[5:6], 2, v[1:2]
	v_fma_f32 v1, -v3, v9, v7
	v_cndmask_b32_e64 v7, 1, s5, s0
	s_mov_b32 s0, 0
	s_delay_alu instid0(VALU_DEP_2) | instskip(SKIP_3) | instid1(VALU_DEP_3)
	v_div_fmas_f32 v3, v1, v4, v9
	s_waitcnt lgkmcnt(0)
	v_add_co_u32 v1, vcc_lo, s12, v5
	v_add_co_ci_u32_e32 v2, vcc_lo, s13, v6, vcc_lo
	v_div_fixup_f32 v9, v3, v8, 1.0
	v_add_co_u32 v3, vcc_lo, s8, v5
	v_add_co_ci_u32_e32 v4, vcc_lo, s9, v6, vcc_lo
	v_add_co_u32 v5, vcc_lo, s10, v5
	s_delay_alu instid0(VALU_DEP_4)
	v_mul_f32_e32 v8, v8, v9
	v_add_co_ci_u32_e32 v6, vcc_lo, s11, v6, vcc_lo
	.p2align	6
.LBB24_5:                               ; =>This Inner Loop Header: Depth=1
	global_store_b32 v[1:2], v8, off
	global_store_b32 v[3:4], v7, off
	;; [unrolled: 1-line block ×3, first 2 shown]
	v_add_co_u32 v1, vcc_lo, v1, 4
	v_add_co_ci_u32_e32 v2, vcc_lo, 0, v2, vcc_lo
	v_add_co_u32 v3, vcc_lo, v3, 4
	s_add_i32 s0, s0, 1
	v_add_co_ci_u32_e32 v4, vcc_lo, 0, v4, vcc_lo
	v_add_co_u32 v5, vcc_lo, v5, 4
	s_cmp_ge_i32 s0, s4
	v_add_co_ci_u32_e32 v6, vcc_lo, 0, v6, vcc_lo
	s_cselect_b32 vcc_lo, -1, 0
	v_add_nc_u32_e32 v0, s2, v0
	v_cndmask_b32_e32 v8, 0xc61c4000, v8, vcc_lo
	s_cmp_lg_u32 s4, s0
	s_cbranch_scc1 .LBB24_5
.LBB24_6:
	s_nop 0
	s_sendmsg sendmsg(MSG_DEALLOC_VGPRS)
	s_endpgm
	.section	.rodata,"a",@progbits
	.p2align	6, 0x0
	.amdhsa_kernel _ZN4vllm3moe17topkGatingSoftmaxILi1ELi1ELi4ELi4ELi64EjEEvPKfPKbPfiPT4_Piiii
		.amdhsa_group_segment_fixed_size 0
		.amdhsa_private_segment_fixed_size 0
		.amdhsa_kernarg_size 60
		.amdhsa_user_sgpr_count 15
		.amdhsa_user_sgpr_dispatch_ptr 0
		.amdhsa_user_sgpr_queue_ptr 0
		.amdhsa_user_sgpr_kernarg_segment_ptr 1
		.amdhsa_user_sgpr_dispatch_id 0
		.amdhsa_user_sgpr_private_segment_size 0
		.amdhsa_wavefront_size32 1
		.amdhsa_uses_dynamic_stack 0
		.amdhsa_enable_private_segment 0
		.amdhsa_system_sgpr_workgroup_id_x 1
		.amdhsa_system_sgpr_workgroup_id_y 0
		.amdhsa_system_sgpr_workgroup_id_z 0
		.amdhsa_system_sgpr_workgroup_info 0
		.amdhsa_system_vgpr_workitem_id 1
		.amdhsa_next_free_vgpr 10
		.amdhsa_next_free_sgpr 16
		.amdhsa_reserve_vcc 1
		.amdhsa_float_round_mode_32 0
		.amdhsa_float_round_mode_16_64 0
		.amdhsa_float_denorm_mode_32 3
		.amdhsa_float_denorm_mode_16_64 3
		.amdhsa_dx10_clamp 1
		.amdhsa_ieee_mode 1
		.amdhsa_fp16_overflow 0
		.amdhsa_workgroup_processor_mode 1
		.amdhsa_memory_ordered 1
		.amdhsa_forward_progress 0
		.amdhsa_shared_vgpr_count 0
		.amdhsa_exception_fp_ieee_invalid_op 0
		.amdhsa_exception_fp_denorm_src 0
		.amdhsa_exception_fp_ieee_div_zero 0
		.amdhsa_exception_fp_ieee_overflow 0
		.amdhsa_exception_fp_ieee_underflow 0
		.amdhsa_exception_fp_ieee_inexact 0
		.amdhsa_exception_int_div_zero 0
	.end_amdhsa_kernel
	.section	.text._ZN4vllm3moe17topkGatingSoftmaxILi1ELi1ELi4ELi4ELi64EjEEvPKfPKbPfiPT4_Piiii,"axG",@progbits,_ZN4vllm3moe17topkGatingSoftmaxILi1ELi1ELi4ELi4ELi64EjEEvPKfPKbPfiPT4_Piiii,comdat
.Lfunc_end24:
	.size	_ZN4vllm3moe17topkGatingSoftmaxILi1ELi1ELi4ELi4ELi64EjEEvPKfPKbPfiPT4_Piiii, .Lfunc_end24-_ZN4vllm3moe17topkGatingSoftmaxILi1ELi1ELi4ELi4ELi64EjEEvPKfPKbPfiPT4_Piiii
                                        ; -- End function
	.section	.AMDGPU.csdata,"",@progbits
; Kernel info:
; codeLenInByte = 656
; NumSgprs: 18
; NumVgprs: 10
; ScratchSize: 0
; MemoryBound: 0
; FloatMode: 240
; IeeeMode: 1
; LDSByteSize: 0 bytes/workgroup (compile time only)
; SGPRBlocks: 2
; VGPRBlocks: 1
; NumSGPRsForWavesPerEU: 18
; NumVGPRsForWavesPerEU: 10
; Occupancy: 16
; WaveLimiterHint : 0
; COMPUTE_PGM_RSRC2:SCRATCH_EN: 0
; COMPUTE_PGM_RSRC2:USER_SGPR: 15
; COMPUTE_PGM_RSRC2:TRAP_HANDLER: 0
; COMPUTE_PGM_RSRC2:TGID_X_EN: 1
; COMPUTE_PGM_RSRC2:TGID_Y_EN: 0
; COMPUTE_PGM_RSRC2:TGID_Z_EN: 0
; COMPUTE_PGM_RSRC2:TIDIG_COMP_CNT: 1
	.section	.text._ZN4vllm3moe17topkGatingSoftmaxILi1ELi1ELi4ELi4ELi32EjEEvPKfPKbPfiPT4_Piiii,"axG",@progbits,_ZN4vllm3moe17topkGatingSoftmaxILi1ELi1ELi4ELi4ELi32EjEEvPKfPKbPfiPT4_Piiii,comdat
	.protected	_ZN4vllm3moe17topkGatingSoftmaxILi1ELi1ELi4ELi4ELi32EjEEvPKfPKbPfiPT4_Piiii ; -- Begin function _ZN4vllm3moe17topkGatingSoftmaxILi1ELi1ELi4ELi4ELi32EjEEvPKfPKbPfiPT4_Piiii
	.globl	_ZN4vllm3moe17topkGatingSoftmaxILi1ELi1ELi4ELi4ELi32EjEEvPKfPKbPfiPT4_Piiii
	.p2align	8
	.type	_ZN4vllm3moe17topkGatingSoftmaxILi1ELi1ELi4ELi4ELi32EjEEvPKfPKbPfiPT4_Piiii,@function
_ZN4vllm3moe17topkGatingSoftmaxILi1ELi1ELi4ELi4ELi32EjEEvPKfPKbPfiPT4_Piiii: ; @_ZN4vllm3moe17topkGatingSoftmaxILi1ELi1ELi4ELi4ELi32EjEEvPKfPKbPfiPT4_Piiii
; %bb.0:
	s_load_b32 s2, s[0:1], 0x18
	v_bfe_u32 v1, v0, 10, 10
	v_and_b32_e32 v0, 0x3ff, v0
	s_lshl_b32 s3, s15, 7
	s_delay_alu instid0(VALU_DEP_2) | instskip(NEXT) | instid1(VALU_DEP_1)
	v_lshlrev_b32_e32 v1, 5, v1
	v_add3_u32 v0, v1, v0, s3
	s_mov_b32 s3, exec_lo
	s_waitcnt lgkmcnt(0)
	s_delay_alu instid0(VALU_DEP_1)
	v_cmpx_gt_i32_e64 s2, v0
	s_cbranch_execz .LBB25_6
; %bb.1:
	s_load_b128 s[8:11], s[0:1], 0x0
	v_ashrrev_i32_e32 v1, 31, v0
	s_waitcnt lgkmcnt(0)
	s_cmp_eq_u64 s[10:11], 0
	s_cbranch_scc1 .LBB25_3
; %bb.2:
	v_add_co_u32 v2, vcc_lo, s10, v0
	v_add_co_ci_u32_e32 v3, vcc_lo, s11, v1, vcc_lo
	global_load_u8 v2, v[2:3], off
	s_waitcnt vmcnt(0)
	v_and_b32_e32 v2, 1, v2
	s_delay_alu instid0(VALU_DEP_1) | instskip(SKIP_1) | instid1(SALU_CYCLE_1)
	v_cmp_eq_u32_e32 vcc_lo, 1, v2
	s_xor_b32 s3, vcc_lo, -1
	s_or_not1_b32 s3, s3, exec_lo
	s_load_b128 s[4:7], s[0:1], 0x30
	s_waitcnt lgkmcnt(0)
	s_cmp_lt_i32 s4, 1
	s_cbranch_scc0 .LBB25_4
	s_branch .LBB25_6
.LBB25_3:
	s_mov_b32 s3, -1
	s_load_b128 s[4:7], s[0:1], 0x30
	s_waitcnt lgkmcnt(0)
	s_cmp_lt_i32 s4, 1
	s_cbranch_scc1 .LBB25_6
.LBB25_4:
	v_lshlrev_b64 v[1:2], 2, v[0:1]
	s_load_b64 s[12:13], s[0:1], 0x10
	s_cmp_lt_i32 s5, 1
	s_delay_alu instid0(VALU_DEP_1) | instskip(NEXT) | instid1(VALU_DEP_2)
	v_add_co_u32 v1, vcc_lo, s8, v1
	v_add_co_ci_u32_e32 v2, vcc_lo, s9, v2, vcc_lo
	s_load_b128 s[8:11], s[0:1], 0x20
	s_cselect_b32 s0, -1, 0
	s_cmp_gt_i32 s6, 0
	global_load_b32 v1, v[1:2], off
	s_cselect_b32 s1, -1, 0
	s_sub_i32 s5, 0, s5
	s_and_b32 s0, s0, s1
	s_delay_alu instid0(SALU_CYCLE_1) | instskip(SKIP_2) | instid1(VALU_DEP_1)
	s_and_b32 s0, s3, s0
	s_waitcnt vmcnt(0)
	v_sub_f32_e32 v1, v1, v1
	v_mul_f32_e32 v2, 0x3fb8aa3b, v1
	s_delay_alu instid0(VALU_DEP_1) | instskip(SKIP_1) | instid1(VALU_DEP_1)
	v_fma_f32 v3, 0x3fb8aa3b, v1, -v2
	v_rndne_f32_e32 v4, v2
	v_sub_f32_e32 v2, v2, v4
	v_cmp_ngt_f32_e32 vcc_lo, 0xc2ce8ed0, v1
	s_delay_alu instid0(VALU_DEP_4) | instskip(NEXT) | instid1(VALU_DEP_1)
	v_fmamk_f32 v3, v1, 0x32a5705f, v3
	v_add_f32_e32 v2, v2, v3
	v_cvt_i32_f32_e32 v3, v4
	s_delay_alu instid0(VALU_DEP_2) | instskip(SKIP_2) | instid1(VALU_DEP_1)
	v_exp_f32_e32 v2, v2
	s_waitcnt_depctr 0xfff
	v_ldexp_f32 v2, v2, v3
	v_cndmask_b32_e32 v2, 0, v2, vcc_lo
	v_cmp_nlt_f32_e32 vcc_lo, 0x42b17218, v1
	s_delay_alu instid0(VALU_DEP_2) | instskip(NEXT) | instid1(VALU_DEP_1)
	v_cndmask_b32_e32 v8, 0x7f800000, v2, vcc_lo
	v_div_scale_f32 v3, null, v8, v8, 1.0
	v_div_scale_f32 v7, vcc_lo, 1.0, v8, 1.0
	s_delay_alu instid0(VALU_DEP_2) | instskip(SKIP_2) | instid1(VALU_DEP_1)
	v_rcp_f32_e32 v4, v3
	s_waitcnt_depctr 0xfff
	v_fma_f32 v1, -v3, v4, 1.0
	v_fmac_f32_e32 v4, v1, v4
	v_mul_lo_u32 v1, v0, s4
	s_delay_alu instid0(VALU_DEP_2) | instskip(NEXT) | instid1(VALU_DEP_2)
	v_mul_f32_e32 v9, v7, v4
	v_ashrrev_i32_e32 v2, 31, v1
	s_delay_alu instid0(VALU_DEP_2) | instskip(NEXT) | instid1(VALU_DEP_1)
	v_fma_f32 v5, -v3, v9, v7
	v_fmac_f32_e32 v9, v5, v4
	s_delay_alu instid0(VALU_DEP_3) | instskip(NEXT) | instid1(VALU_DEP_2)
	v_lshlrev_b64 v[5:6], 2, v[1:2]
	v_fma_f32 v1, -v3, v9, v7
	v_cndmask_b32_e64 v7, 1, s5, s0
	s_mov_b32 s0, 0
	s_delay_alu instid0(VALU_DEP_2) | instskip(SKIP_3) | instid1(VALU_DEP_3)
	v_div_fmas_f32 v3, v1, v4, v9
	s_waitcnt lgkmcnt(0)
	v_add_co_u32 v1, vcc_lo, s12, v5
	v_add_co_ci_u32_e32 v2, vcc_lo, s13, v6, vcc_lo
	v_div_fixup_f32 v9, v3, v8, 1.0
	v_add_co_u32 v3, vcc_lo, s8, v5
	v_add_co_ci_u32_e32 v4, vcc_lo, s9, v6, vcc_lo
	v_add_co_u32 v5, vcc_lo, s10, v5
	s_delay_alu instid0(VALU_DEP_4)
	v_mul_f32_e32 v8, v8, v9
	v_add_co_ci_u32_e32 v6, vcc_lo, s11, v6, vcc_lo
	.p2align	6
.LBB25_5:                               ; =>This Inner Loop Header: Depth=1
	global_store_b32 v[1:2], v8, off
	global_store_b32 v[3:4], v7, off
	;; [unrolled: 1-line block ×3, first 2 shown]
	v_add_co_u32 v1, vcc_lo, v1, 4
	v_add_co_ci_u32_e32 v2, vcc_lo, 0, v2, vcc_lo
	v_add_co_u32 v3, vcc_lo, v3, 4
	s_add_i32 s0, s0, 1
	v_add_co_ci_u32_e32 v4, vcc_lo, 0, v4, vcc_lo
	v_add_co_u32 v5, vcc_lo, v5, 4
	s_cmp_ge_i32 s0, s4
	v_add_co_ci_u32_e32 v6, vcc_lo, 0, v6, vcc_lo
	s_cselect_b32 vcc_lo, -1, 0
	v_add_nc_u32_e32 v0, s2, v0
	v_cndmask_b32_e32 v8, 0xc61c4000, v8, vcc_lo
	s_cmp_lg_u32 s4, s0
	s_cbranch_scc1 .LBB25_5
.LBB25_6:
	s_nop 0
	s_sendmsg sendmsg(MSG_DEALLOC_VGPRS)
	s_endpgm
	.section	.rodata,"a",@progbits
	.p2align	6, 0x0
	.amdhsa_kernel _ZN4vllm3moe17topkGatingSoftmaxILi1ELi1ELi4ELi4ELi32EjEEvPKfPKbPfiPT4_Piiii
		.amdhsa_group_segment_fixed_size 0
		.amdhsa_private_segment_fixed_size 0
		.amdhsa_kernarg_size 60
		.amdhsa_user_sgpr_count 15
		.amdhsa_user_sgpr_dispatch_ptr 0
		.amdhsa_user_sgpr_queue_ptr 0
		.amdhsa_user_sgpr_kernarg_segment_ptr 1
		.amdhsa_user_sgpr_dispatch_id 0
		.amdhsa_user_sgpr_private_segment_size 0
		.amdhsa_wavefront_size32 1
		.amdhsa_uses_dynamic_stack 0
		.amdhsa_enable_private_segment 0
		.amdhsa_system_sgpr_workgroup_id_x 1
		.amdhsa_system_sgpr_workgroup_id_y 0
		.amdhsa_system_sgpr_workgroup_id_z 0
		.amdhsa_system_sgpr_workgroup_info 0
		.amdhsa_system_vgpr_workitem_id 1
		.amdhsa_next_free_vgpr 10
		.amdhsa_next_free_sgpr 16
		.amdhsa_reserve_vcc 1
		.amdhsa_float_round_mode_32 0
		.amdhsa_float_round_mode_16_64 0
		.amdhsa_float_denorm_mode_32 3
		.amdhsa_float_denorm_mode_16_64 3
		.amdhsa_dx10_clamp 1
		.amdhsa_ieee_mode 1
		.amdhsa_fp16_overflow 0
		.amdhsa_workgroup_processor_mode 1
		.amdhsa_memory_ordered 1
		.amdhsa_forward_progress 0
		.amdhsa_shared_vgpr_count 0
		.amdhsa_exception_fp_ieee_invalid_op 0
		.amdhsa_exception_fp_denorm_src 0
		.amdhsa_exception_fp_ieee_div_zero 0
		.amdhsa_exception_fp_ieee_overflow 0
		.amdhsa_exception_fp_ieee_underflow 0
		.amdhsa_exception_fp_ieee_inexact 0
		.amdhsa_exception_int_div_zero 0
	.end_amdhsa_kernel
	.section	.text._ZN4vllm3moe17topkGatingSoftmaxILi1ELi1ELi4ELi4ELi32EjEEvPKfPKbPfiPT4_Piiii,"axG",@progbits,_ZN4vllm3moe17topkGatingSoftmaxILi1ELi1ELi4ELi4ELi32EjEEvPKfPKbPfiPT4_Piiii,comdat
.Lfunc_end25:
	.size	_ZN4vllm3moe17topkGatingSoftmaxILi1ELi1ELi4ELi4ELi32EjEEvPKfPKbPfiPT4_Piiii, .Lfunc_end25-_ZN4vllm3moe17topkGatingSoftmaxILi1ELi1ELi4ELi4ELi32EjEEvPKfPKbPfiPT4_Piiii
                                        ; -- End function
	.section	.AMDGPU.csdata,"",@progbits
; Kernel info:
; codeLenInByte = 656
; NumSgprs: 18
; NumVgprs: 10
; ScratchSize: 0
; MemoryBound: 0
; FloatMode: 240
; IeeeMode: 1
; LDSByteSize: 0 bytes/workgroup (compile time only)
; SGPRBlocks: 2
; VGPRBlocks: 1
; NumSGPRsForWavesPerEU: 18
; NumVGPRsForWavesPerEU: 10
; Occupancy: 16
; WaveLimiterHint : 0
; COMPUTE_PGM_RSRC2:SCRATCH_EN: 0
; COMPUTE_PGM_RSRC2:USER_SGPR: 15
; COMPUTE_PGM_RSRC2:TRAP_HANDLER: 0
; COMPUTE_PGM_RSRC2:TGID_X_EN: 1
; COMPUTE_PGM_RSRC2:TGID_Y_EN: 0
; COMPUTE_PGM_RSRC2:TGID_Z_EN: 0
; COMPUTE_PGM_RSRC2:TIDIG_COMP_CNT: 1
	.section	.text._ZN4vllm3moe17topkGatingSoftmaxILi2ELi2ELi4ELi8ELi64EjEEvPKfPKbPfiPT4_Piiii,"axG",@progbits,_ZN4vllm3moe17topkGatingSoftmaxILi2ELi2ELi4ELi8ELi64EjEEvPKfPKbPfiPT4_Piiii,comdat
	.protected	_ZN4vllm3moe17topkGatingSoftmaxILi2ELi2ELi4ELi8ELi64EjEEvPKfPKbPfiPT4_Piiii ; -- Begin function _ZN4vllm3moe17topkGatingSoftmaxILi2ELi2ELi4ELi8ELi64EjEEvPKfPKbPfiPT4_Piiii
	.globl	_ZN4vllm3moe17topkGatingSoftmaxILi2ELi2ELi4ELi8ELi64EjEEvPKfPKbPfiPT4_Piiii
	.p2align	8
	.type	_ZN4vllm3moe17topkGatingSoftmaxILi2ELi2ELi4ELi8ELi64EjEEvPKfPKbPfiPT4_Piiii,@function
_ZN4vllm3moe17topkGatingSoftmaxILi2ELi2ELi4ELi8ELi64EjEEvPKfPKbPfiPT4_Piiii: ; @_ZN4vllm3moe17topkGatingSoftmaxILi2ELi2ELi4ELi8ELi64EjEEvPKfPKbPfiPT4_Piiii
; %bb.0:
	s_load_b32 s2, s[0:1], 0x18
	v_bfe_u32 v1, v0, 10, 10
	v_and_b32_e32 v0, 0x3ff, v0
	s_lshl_b32 s3, s15, 8
	s_delay_alu instid0(VALU_DEP_2) | instskip(NEXT) | instid1(VALU_DEP_1)
	v_lshlrev_b32_e32 v1, 6, v1
	v_add3_u32 v6, v1, v0, s3
	s_mov_b32 s3, exec_lo
	s_waitcnt lgkmcnt(0)
	s_delay_alu instid0(VALU_DEP_1)
	v_cmpx_gt_i32_e64 s2, v6
	s_cbranch_execz .LBB26_6
; %bb.1:
	s_load_b128 s[8:11], s[0:1], 0x0
	s_waitcnt lgkmcnt(0)
	s_cmp_eq_u64 s[10:11], 0
	s_cbranch_scc1 .LBB26_3
; %bb.2:
	v_ashrrev_i32_e32 v1, 31, v6
	v_add_co_u32 v0, vcc_lo, s10, v6
	s_delay_alu instid0(VALU_DEP_2) | instskip(SKIP_3) | instid1(VALU_DEP_1)
	v_add_co_ci_u32_e32 v1, vcc_lo, s11, v1, vcc_lo
	global_load_u8 v0, v[0:1], off
	s_waitcnt vmcnt(0)
	v_and_b32_e32 v0, 1, v0
	v_cmp_eq_u32_e32 vcc_lo, 1, v0
	s_xor_b32 s3, vcc_lo, -1
	s_delay_alu instid0(SALU_CYCLE_1)
	s_or_not1_b32 s3, s3, exec_lo
	s_load_b128 s[4:7], s[0:1], 0x30
	s_waitcnt lgkmcnt(0)
	s_cmp_lt_i32 s4, 1
	s_cbranch_scc0 .LBB26_4
	s_branch .LBB26_6
.LBB26_3:
	s_mov_b32 s3, -1
	s_load_b128 s[4:7], s[0:1], 0x30
	s_waitcnt lgkmcnt(0)
	s_cmp_lt_i32 s4, 1
	s_cbranch_scc1 .LBB26_6
.LBB26_4:
	v_lshlrev_b32_e32 v0, 1, v6
	s_load_b64 s[12:13], s[0:1], 0x10
	s_mov_b32 s7, 0
	s_delay_alu instid0(VALU_DEP_1) | instskip(NEXT) | instid1(VALU_DEP_1)
	v_ashrrev_i32_e32 v1, 31, v0
	v_lshlrev_b64 v[0:1], 2, v[0:1]
	s_delay_alu instid0(VALU_DEP_1) | instskip(NEXT) | instid1(VALU_DEP_2)
	v_add_co_u32 v0, vcc_lo, s8, v0
	v_add_co_ci_u32_e32 v1, vcc_lo, s9, v1, vcc_lo
	s_load_b128 s[8:11], s[0:1], 0x20
	global_load_b64 v[0:1], v[0:1], off
	s_waitcnt vmcnt(0)
	v_dual_max_f32 v2, v1, v1 :: v_dual_max_f32 v3, v0, v0
	s_delay_alu instid0(VALU_DEP_1) | instskip(NEXT) | instid1(VALU_DEP_1)
	v_max_f32_e32 v2, v3, v2
	v_sub_f32_e32 v1, v1, v2
	s_delay_alu instid0(VALU_DEP_1) | instskip(NEXT) | instid1(VALU_DEP_1)
	v_mul_f32_e32 v3, 0x3fb8aa3b, v1
	v_fma_f32 v7, 0x3fb8aa3b, v1, -v3
	v_rndne_f32_e32 v8, v3
	s_delay_alu instid0(VALU_DEP_2) | instskip(NEXT) | instid1(VALU_DEP_2)
	v_dual_fmac_f32 v7, 0x32a5705f, v1 :: v_dual_sub_f32 v0, v0, v2
	v_sub_f32_e32 v3, v3, v8
	s_delay_alu instid0(VALU_DEP_2) | instskip(SKIP_1) | instid1(VALU_DEP_3)
	v_mul_f32_e32 v2, 0x3fb8aa3b, v0
	v_cmp_ngt_f32_e32 vcc_lo, 0xc2ce8ed0, v0
	v_add_f32_e32 v3, v3, v7
	s_delay_alu instid0(VALU_DEP_3) | instskip(SKIP_1) | instid1(VALU_DEP_3)
	v_fma_f32 v4, 0x3fb8aa3b, v0, -v2
	v_rndne_f32_e32 v5, v2
	v_exp_f32_e32 v3, v3
	s_delay_alu instid0(VALU_DEP_2) | instskip(NEXT) | instid1(VALU_DEP_2)
	v_fmac_f32_e32 v4, 0x32a5705f, v0
	v_sub_f32_e32 v2, v2, v5
	s_delay_alu instid0(VALU_DEP_1) | instskip(SKIP_2) | instid1(VALU_DEP_3)
	v_add_f32_e32 v2, v2, v4
	v_cvt_i32_f32_e32 v4, v5
	v_cvt_i32_f32_e32 v5, v8
	v_exp_f32_e32 v2, v2
	s_delay_alu instid0(TRANS32_DEP_2) | instid1(VALU_DEP_1)
	v_ldexp_f32 v3, v3, v5
	s_waitcnt_depctr 0xfff
	v_ldexp_f32 v2, v2, v4
	s_delay_alu instid0(VALU_DEP_1) | instskip(SKIP_3) | instid1(VALU_DEP_4)
	v_cndmask_b32_e32 v2, 0, v2, vcc_lo
	v_cmp_ngt_f32_e32 vcc_lo, 0xc2ce8ed0, v1
	v_cndmask_b32_e32 v3, 0, v3, vcc_lo
	v_cmp_nlt_f32_e32 vcc_lo, 0x42b17218, v0
	v_cndmask_b32_e32 v8, 0x7f800000, v2, vcc_lo
	v_cmp_nlt_f32_e32 vcc_lo, 0x42b17218, v1
	s_delay_alu instid0(VALU_DEP_4) | instskip(NEXT) | instid1(VALU_DEP_1)
	v_cndmask_b32_e32 v7, 0x7f800000, v3, vcc_lo
	v_add_f32_e32 v2, v8, v7
	s_delay_alu instid0(VALU_DEP_1) | instskip(SKIP_1) | instid1(VALU_DEP_2)
	v_div_scale_f32 v3, null, v2, v2, 1.0
	v_div_scale_f32 v4, vcc_lo, 1.0, v2, 1.0
	v_rcp_f32_e32 v9, v3
	s_waitcnt_depctr 0xfff
	v_fma_f32 v0, -v3, v9, 1.0
	s_delay_alu instid0(VALU_DEP_1) | instskip(SKIP_1) | instid1(VALU_DEP_2)
	v_fmac_f32_e32 v9, v0, v9
	v_mul_lo_u32 v0, v6, s4
	v_mul_f32_e32 v10, v4, v9
	s_delay_alu instid0(VALU_DEP_1) | instskip(NEXT) | instid1(VALU_DEP_1)
	v_fma_f32 v1, -v3, v10, v4
	v_fmac_f32_e32 v10, v1, v9
	s_delay_alu instid0(VALU_DEP_4) | instskip(NEXT) | instid1(VALU_DEP_2)
	v_ashrrev_i32_e32 v1, 31, v0
	v_fma_f32 v3, -v3, v10, v4
	s_delay_alu instid0(VALU_DEP_2) | instskip(NEXT) | instid1(VALU_DEP_2)
	v_lshlrev_b64 v[4:5], 2, v[0:1]
	v_div_fmas_f32 v3, v3, v9, v10
	s_waitcnt lgkmcnt(0)
	s_delay_alu instid0(VALU_DEP_2) | instskip(NEXT) | instid1(VALU_DEP_3)
	v_add_co_u32 v0, vcc_lo, s12, v4
	v_add_co_ci_u32_e32 v1, vcc_lo, s13, v5, vcc_lo
	s_delay_alu instid0(VALU_DEP_3) | instskip(SKIP_2) | instid1(VALU_DEP_3)
	v_div_fixup_f32 v9, v3, v2, 1.0
	v_add_co_u32 v2, vcc_lo, s8, v4
	v_add_co_ci_u32_e32 v3, vcc_lo, s9, v5, vcc_lo
	v_mul_f32_e32 v7, v9, v7
	v_add_co_u32 v4, vcc_lo, s10, v4
	v_mul_f32_e32 v8, v9, v8
	v_add_co_ci_u32_e32 v5, vcc_lo, s11, v5, vcc_lo
	s_set_inst_prefetch_distance 0x1
	.p2align	6
.LBB26_5:                               ; =>This Inner Loop Header: Depth=1
	s_delay_alu instid0(VALU_DEP_2) | instskip(SKIP_4) | instid1(VALU_DEP_3)
	v_cmp_gt_f32_e32 vcc_lo, v7, v8
	s_add_i32 s7, s7, 1
	v_cndmask_b32_e64 v10, 0, 1, vcc_lo
	v_cndmask_b32_e32 v9, v8, v7, vcc_lo
	v_cndmask_b32_e64 v11, v7, 0xc61c4000, vcc_lo
	v_cmp_le_i32_e64 s0, s5, v10
	v_cmp_gt_i32_e64 s1, s6, v10
	v_subrev_nc_u32_e32 v10, s5, v10
	global_store_b32 v[0:1], v9, off
	v_cndmask_b32_e32 v9, 0xc61c4000, v8, vcc_lo
	s_and_b32 s0, s0, s1
	s_delay_alu instid0(SALU_CYCLE_1)
	s_and_b32 s0, s3, s0
	s_cmp_lt_i32 s7, s4
	v_cndmask_b32_e64 v10, 2, v10, s0
	s_cselect_b32 vcc_lo, -1, 0
	s_cmp_lg_u32 s4, s7
	v_dual_cndmask_b32 v8, v8, v9 :: v_dual_cndmask_b32 v7, v7, v11
	v_add_co_u32 v0, vcc_lo, v0, 4
	v_add_co_ci_u32_e32 v1, vcc_lo, 0, v1, vcc_lo
	global_store_b32 v[2:3], v10, off
	global_store_b32 v[4:5], v6, off
	v_add_co_u32 v2, vcc_lo, v2, 4
	v_add_co_ci_u32_e32 v3, vcc_lo, 0, v3, vcc_lo
	v_add_co_u32 v4, vcc_lo, v4, 4
	v_add_nc_u32_e32 v6, s2, v6
	v_add_co_ci_u32_e32 v5, vcc_lo, 0, v5, vcc_lo
	s_cbranch_scc1 .LBB26_5
.LBB26_6:
	s_set_inst_prefetch_distance 0x2
	s_nop 0
	s_sendmsg sendmsg(MSG_DEALLOC_VGPRS)
	s_endpgm
	.section	.rodata,"a",@progbits
	.p2align	6, 0x0
	.amdhsa_kernel _ZN4vllm3moe17topkGatingSoftmaxILi2ELi2ELi4ELi8ELi64EjEEvPKfPKbPfiPT4_Piiii
		.amdhsa_group_segment_fixed_size 0
		.amdhsa_private_segment_fixed_size 0
		.amdhsa_kernarg_size 60
		.amdhsa_user_sgpr_count 15
		.amdhsa_user_sgpr_dispatch_ptr 0
		.amdhsa_user_sgpr_queue_ptr 0
		.amdhsa_user_sgpr_kernarg_segment_ptr 1
		.amdhsa_user_sgpr_dispatch_id 0
		.amdhsa_user_sgpr_private_segment_size 0
		.amdhsa_wavefront_size32 1
		.amdhsa_uses_dynamic_stack 0
		.amdhsa_enable_private_segment 0
		.amdhsa_system_sgpr_workgroup_id_x 1
		.amdhsa_system_sgpr_workgroup_id_y 0
		.amdhsa_system_sgpr_workgroup_id_z 0
		.amdhsa_system_sgpr_workgroup_info 0
		.amdhsa_system_vgpr_workitem_id 1
		.amdhsa_next_free_vgpr 12
		.amdhsa_next_free_sgpr 16
		.amdhsa_reserve_vcc 1
		.amdhsa_float_round_mode_32 0
		.amdhsa_float_round_mode_16_64 0
		.amdhsa_float_denorm_mode_32 3
		.amdhsa_float_denorm_mode_16_64 3
		.amdhsa_dx10_clamp 1
		.amdhsa_ieee_mode 1
		.amdhsa_fp16_overflow 0
		.amdhsa_workgroup_processor_mode 1
		.amdhsa_memory_ordered 1
		.amdhsa_forward_progress 0
		.amdhsa_shared_vgpr_count 0
		.amdhsa_exception_fp_ieee_invalid_op 0
		.amdhsa_exception_fp_denorm_src 0
		.amdhsa_exception_fp_ieee_div_zero 0
		.amdhsa_exception_fp_ieee_overflow 0
		.amdhsa_exception_fp_ieee_underflow 0
		.amdhsa_exception_fp_ieee_inexact 0
		.amdhsa_exception_int_div_zero 0
	.end_amdhsa_kernel
	.section	.text._ZN4vllm3moe17topkGatingSoftmaxILi2ELi2ELi4ELi8ELi64EjEEvPKfPKbPfiPT4_Piiii,"axG",@progbits,_ZN4vllm3moe17topkGatingSoftmaxILi2ELi2ELi4ELi8ELi64EjEEvPKfPKbPfiPT4_Piiii,comdat
.Lfunc_end26:
	.size	_ZN4vllm3moe17topkGatingSoftmaxILi2ELi2ELi4ELi8ELi64EjEEvPKfPKbPfiPT4_Piiii, .Lfunc_end26-_ZN4vllm3moe17topkGatingSoftmaxILi2ELi2ELi4ELi8ELi64EjEEvPKfPKbPfiPT4_Piiii
                                        ; -- End function
	.section	.AMDGPU.csdata,"",@progbits
; Kernel info:
; codeLenInByte = 856
; NumSgprs: 18
; NumVgprs: 12
; ScratchSize: 0
; MemoryBound: 0
; FloatMode: 240
; IeeeMode: 1
; LDSByteSize: 0 bytes/workgroup (compile time only)
; SGPRBlocks: 2
; VGPRBlocks: 1
; NumSGPRsForWavesPerEU: 18
; NumVGPRsForWavesPerEU: 12
; Occupancy: 16
; WaveLimiterHint : 0
; COMPUTE_PGM_RSRC2:SCRATCH_EN: 0
; COMPUTE_PGM_RSRC2:USER_SGPR: 15
; COMPUTE_PGM_RSRC2:TRAP_HANDLER: 0
; COMPUTE_PGM_RSRC2:TGID_X_EN: 1
; COMPUTE_PGM_RSRC2:TGID_Y_EN: 0
; COMPUTE_PGM_RSRC2:TGID_Z_EN: 0
; COMPUTE_PGM_RSRC2:TIDIG_COMP_CNT: 1
	.section	.text._ZN4vllm3moe17topkGatingSoftmaxILi2ELi2ELi4ELi8ELi32EjEEvPKfPKbPfiPT4_Piiii,"axG",@progbits,_ZN4vllm3moe17topkGatingSoftmaxILi2ELi2ELi4ELi8ELi32EjEEvPKfPKbPfiPT4_Piiii,comdat
	.protected	_ZN4vllm3moe17topkGatingSoftmaxILi2ELi2ELi4ELi8ELi32EjEEvPKfPKbPfiPT4_Piiii ; -- Begin function _ZN4vllm3moe17topkGatingSoftmaxILi2ELi2ELi4ELi8ELi32EjEEvPKfPKbPfiPT4_Piiii
	.globl	_ZN4vllm3moe17topkGatingSoftmaxILi2ELi2ELi4ELi8ELi32EjEEvPKfPKbPfiPT4_Piiii
	.p2align	8
	.type	_ZN4vllm3moe17topkGatingSoftmaxILi2ELi2ELi4ELi8ELi32EjEEvPKfPKbPfiPT4_Piiii,@function
_ZN4vllm3moe17topkGatingSoftmaxILi2ELi2ELi4ELi8ELi32EjEEvPKfPKbPfiPT4_Piiii: ; @_ZN4vllm3moe17topkGatingSoftmaxILi2ELi2ELi4ELi8ELi32EjEEvPKfPKbPfiPT4_Piiii
; %bb.0:
	s_load_b32 s2, s[0:1], 0x18
	v_bfe_u32 v1, v0, 10, 10
	v_and_b32_e32 v0, 0x3ff, v0
	s_lshl_b32 s3, s15, 7
	s_delay_alu instid0(VALU_DEP_2) | instskip(NEXT) | instid1(VALU_DEP_1)
	v_lshlrev_b32_e32 v1, 5, v1
	v_add3_u32 v6, v1, v0, s3
	s_mov_b32 s3, exec_lo
	s_waitcnt lgkmcnt(0)
	s_delay_alu instid0(VALU_DEP_1)
	v_cmpx_gt_i32_e64 s2, v6
	s_cbranch_execz .LBB27_6
; %bb.1:
	s_load_b128 s[8:11], s[0:1], 0x0
	s_waitcnt lgkmcnt(0)
	s_cmp_eq_u64 s[10:11], 0
	s_cbranch_scc1 .LBB27_3
; %bb.2:
	v_ashrrev_i32_e32 v1, 31, v6
	v_add_co_u32 v0, vcc_lo, s10, v6
	s_delay_alu instid0(VALU_DEP_2) | instskip(SKIP_3) | instid1(VALU_DEP_1)
	v_add_co_ci_u32_e32 v1, vcc_lo, s11, v1, vcc_lo
	global_load_u8 v0, v[0:1], off
	s_waitcnt vmcnt(0)
	v_and_b32_e32 v0, 1, v0
	v_cmp_eq_u32_e32 vcc_lo, 1, v0
	s_xor_b32 s3, vcc_lo, -1
	s_delay_alu instid0(SALU_CYCLE_1)
	s_or_not1_b32 s3, s3, exec_lo
	s_load_b128 s[4:7], s[0:1], 0x30
	s_waitcnt lgkmcnt(0)
	s_cmp_lt_i32 s4, 1
	s_cbranch_scc0 .LBB27_4
	s_branch .LBB27_6
.LBB27_3:
	s_mov_b32 s3, -1
	s_load_b128 s[4:7], s[0:1], 0x30
	s_waitcnt lgkmcnt(0)
	s_cmp_lt_i32 s4, 1
	s_cbranch_scc1 .LBB27_6
.LBB27_4:
	v_lshlrev_b32_e32 v0, 1, v6
	s_load_b64 s[12:13], s[0:1], 0x10
	s_mov_b32 s7, 0
	s_delay_alu instid0(VALU_DEP_1) | instskip(NEXT) | instid1(VALU_DEP_1)
	v_ashrrev_i32_e32 v1, 31, v0
	v_lshlrev_b64 v[0:1], 2, v[0:1]
	s_delay_alu instid0(VALU_DEP_1) | instskip(NEXT) | instid1(VALU_DEP_2)
	v_add_co_u32 v0, vcc_lo, s8, v0
	v_add_co_ci_u32_e32 v1, vcc_lo, s9, v1, vcc_lo
	s_load_b128 s[8:11], s[0:1], 0x20
	global_load_b64 v[0:1], v[0:1], off
	s_waitcnt vmcnt(0)
	v_dual_max_f32 v2, v1, v1 :: v_dual_max_f32 v3, v0, v0
	s_delay_alu instid0(VALU_DEP_1) | instskip(NEXT) | instid1(VALU_DEP_1)
	v_max_f32_e32 v2, v3, v2
	v_sub_f32_e32 v1, v1, v2
	s_delay_alu instid0(VALU_DEP_1) | instskip(NEXT) | instid1(VALU_DEP_1)
	v_mul_f32_e32 v3, 0x3fb8aa3b, v1
	v_fma_f32 v7, 0x3fb8aa3b, v1, -v3
	v_rndne_f32_e32 v8, v3
	s_delay_alu instid0(VALU_DEP_2) | instskip(NEXT) | instid1(VALU_DEP_2)
	v_dual_fmac_f32 v7, 0x32a5705f, v1 :: v_dual_sub_f32 v0, v0, v2
	v_sub_f32_e32 v3, v3, v8
	s_delay_alu instid0(VALU_DEP_2) | instskip(SKIP_1) | instid1(VALU_DEP_3)
	v_mul_f32_e32 v2, 0x3fb8aa3b, v0
	v_cmp_ngt_f32_e32 vcc_lo, 0xc2ce8ed0, v0
	v_add_f32_e32 v3, v3, v7
	s_delay_alu instid0(VALU_DEP_3) | instskip(SKIP_1) | instid1(VALU_DEP_3)
	v_fma_f32 v4, 0x3fb8aa3b, v0, -v2
	v_rndne_f32_e32 v5, v2
	v_exp_f32_e32 v3, v3
	s_delay_alu instid0(VALU_DEP_2) | instskip(NEXT) | instid1(VALU_DEP_2)
	v_fmac_f32_e32 v4, 0x32a5705f, v0
	v_sub_f32_e32 v2, v2, v5
	s_delay_alu instid0(VALU_DEP_1) | instskip(SKIP_2) | instid1(VALU_DEP_3)
	v_add_f32_e32 v2, v2, v4
	v_cvt_i32_f32_e32 v4, v5
	v_cvt_i32_f32_e32 v5, v8
	v_exp_f32_e32 v2, v2
	s_delay_alu instid0(TRANS32_DEP_2) | instid1(VALU_DEP_1)
	v_ldexp_f32 v3, v3, v5
	s_waitcnt_depctr 0xfff
	v_ldexp_f32 v2, v2, v4
	s_delay_alu instid0(VALU_DEP_1) | instskip(SKIP_3) | instid1(VALU_DEP_4)
	v_cndmask_b32_e32 v2, 0, v2, vcc_lo
	v_cmp_ngt_f32_e32 vcc_lo, 0xc2ce8ed0, v1
	v_cndmask_b32_e32 v3, 0, v3, vcc_lo
	v_cmp_nlt_f32_e32 vcc_lo, 0x42b17218, v0
	v_cndmask_b32_e32 v8, 0x7f800000, v2, vcc_lo
	v_cmp_nlt_f32_e32 vcc_lo, 0x42b17218, v1
	s_delay_alu instid0(VALU_DEP_4) | instskip(NEXT) | instid1(VALU_DEP_1)
	v_cndmask_b32_e32 v7, 0x7f800000, v3, vcc_lo
	v_add_f32_e32 v2, v8, v7
	s_delay_alu instid0(VALU_DEP_1) | instskip(SKIP_1) | instid1(VALU_DEP_2)
	v_div_scale_f32 v3, null, v2, v2, 1.0
	v_div_scale_f32 v4, vcc_lo, 1.0, v2, 1.0
	v_rcp_f32_e32 v9, v3
	s_waitcnt_depctr 0xfff
	v_fma_f32 v0, -v3, v9, 1.0
	s_delay_alu instid0(VALU_DEP_1) | instskip(SKIP_1) | instid1(VALU_DEP_2)
	v_fmac_f32_e32 v9, v0, v9
	v_mul_lo_u32 v0, v6, s4
	v_mul_f32_e32 v10, v4, v9
	s_delay_alu instid0(VALU_DEP_1) | instskip(NEXT) | instid1(VALU_DEP_1)
	v_fma_f32 v1, -v3, v10, v4
	v_fmac_f32_e32 v10, v1, v9
	s_delay_alu instid0(VALU_DEP_4) | instskip(NEXT) | instid1(VALU_DEP_2)
	v_ashrrev_i32_e32 v1, 31, v0
	v_fma_f32 v3, -v3, v10, v4
	s_delay_alu instid0(VALU_DEP_2) | instskip(NEXT) | instid1(VALU_DEP_2)
	v_lshlrev_b64 v[4:5], 2, v[0:1]
	v_div_fmas_f32 v3, v3, v9, v10
	s_waitcnt lgkmcnt(0)
	s_delay_alu instid0(VALU_DEP_2) | instskip(NEXT) | instid1(VALU_DEP_3)
	v_add_co_u32 v0, vcc_lo, s12, v4
	v_add_co_ci_u32_e32 v1, vcc_lo, s13, v5, vcc_lo
	s_delay_alu instid0(VALU_DEP_3) | instskip(SKIP_2) | instid1(VALU_DEP_3)
	v_div_fixup_f32 v9, v3, v2, 1.0
	v_add_co_u32 v2, vcc_lo, s8, v4
	v_add_co_ci_u32_e32 v3, vcc_lo, s9, v5, vcc_lo
	v_mul_f32_e32 v7, v9, v7
	v_add_co_u32 v4, vcc_lo, s10, v4
	v_mul_f32_e32 v8, v9, v8
	v_add_co_ci_u32_e32 v5, vcc_lo, s11, v5, vcc_lo
	s_set_inst_prefetch_distance 0x1
	.p2align	6
.LBB27_5:                               ; =>This Inner Loop Header: Depth=1
	s_delay_alu instid0(VALU_DEP_2) | instskip(SKIP_4) | instid1(VALU_DEP_3)
	v_cmp_gt_f32_e32 vcc_lo, v7, v8
	s_add_i32 s7, s7, 1
	v_cndmask_b32_e64 v10, 0, 1, vcc_lo
	v_cndmask_b32_e32 v9, v8, v7, vcc_lo
	v_cndmask_b32_e64 v11, v7, 0xc61c4000, vcc_lo
	v_cmp_le_i32_e64 s0, s5, v10
	v_cmp_gt_i32_e64 s1, s6, v10
	v_subrev_nc_u32_e32 v10, s5, v10
	global_store_b32 v[0:1], v9, off
	v_cndmask_b32_e32 v9, 0xc61c4000, v8, vcc_lo
	s_and_b32 s0, s0, s1
	s_delay_alu instid0(SALU_CYCLE_1)
	s_and_b32 s0, s3, s0
	s_cmp_lt_i32 s7, s4
	v_cndmask_b32_e64 v10, 2, v10, s0
	s_cselect_b32 vcc_lo, -1, 0
	s_cmp_lg_u32 s4, s7
	v_dual_cndmask_b32 v8, v8, v9 :: v_dual_cndmask_b32 v7, v7, v11
	v_add_co_u32 v0, vcc_lo, v0, 4
	v_add_co_ci_u32_e32 v1, vcc_lo, 0, v1, vcc_lo
	global_store_b32 v[2:3], v10, off
	global_store_b32 v[4:5], v6, off
	v_add_co_u32 v2, vcc_lo, v2, 4
	v_add_co_ci_u32_e32 v3, vcc_lo, 0, v3, vcc_lo
	v_add_co_u32 v4, vcc_lo, v4, 4
	v_add_nc_u32_e32 v6, s2, v6
	v_add_co_ci_u32_e32 v5, vcc_lo, 0, v5, vcc_lo
	s_cbranch_scc1 .LBB27_5
.LBB27_6:
	s_set_inst_prefetch_distance 0x2
	s_nop 0
	s_sendmsg sendmsg(MSG_DEALLOC_VGPRS)
	s_endpgm
	.section	.rodata,"a",@progbits
	.p2align	6, 0x0
	.amdhsa_kernel _ZN4vllm3moe17topkGatingSoftmaxILi2ELi2ELi4ELi8ELi32EjEEvPKfPKbPfiPT4_Piiii
		.amdhsa_group_segment_fixed_size 0
		.amdhsa_private_segment_fixed_size 0
		.amdhsa_kernarg_size 60
		.amdhsa_user_sgpr_count 15
		.amdhsa_user_sgpr_dispatch_ptr 0
		.amdhsa_user_sgpr_queue_ptr 0
		.amdhsa_user_sgpr_kernarg_segment_ptr 1
		.amdhsa_user_sgpr_dispatch_id 0
		.amdhsa_user_sgpr_private_segment_size 0
		.amdhsa_wavefront_size32 1
		.amdhsa_uses_dynamic_stack 0
		.amdhsa_enable_private_segment 0
		.amdhsa_system_sgpr_workgroup_id_x 1
		.amdhsa_system_sgpr_workgroup_id_y 0
		.amdhsa_system_sgpr_workgroup_id_z 0
		.amdhsa_system_sgpr_workgroup_info 0
		.amdhsa_system_vgpr_workitem_id 1
		.amdhsa_next_free_vgpr 12
		.amdhsa_next_free_sgpr 16
		.amdhsa_reserve_vcc 1
		.amdhsa_float_round_mode_32 0
		.amdhsa_float_round_mode_16_64 0
		.amdhsa_float_denorm_mode_32 3
		.amdhsa_float_denorm_mode_16_64 3
		.amdhsa_dx10_clamp 1
		.amdhsa_ieee_mode 1
		.amdhsa_fp16_overflow 0
		.amdhsa_workgroup_processor_mode 1
		.amdhsa_memory_ordered 1
		.amdhsa_forward_progress 0
		.amdhsa_shared_vgpr_count 0
		.amdhsa_exception_fp_ieee_invalid_op 0
		.amdhsa_exception_fp_denorm_src 0
		.amdhsa_exception_fp_ieee_div_zero 0
		.amdhsa_exception_fp_ieee_overflow 0
		.amdhsa_exception_fp_ieee_underflow 0
		.amdhsa_exception_fp_ieee_inexact 0
		.amdhsa_exception_int_div_zero 0
	.end_amdhsa_kernel
	.section	.text._ZN4vllm3moe17topkGatingSoftmaxILi2ELi2ELi4ELi8ELi32EjEEvPKfPKbPfiPT4_Piiii,"axG",@progbits,_ZN4vllm3moe17topkGatingSoftmaxILi2ELi2ELi4ELi8ELi32EjEEvPKfPKbPfiPT4_Piiii,comdat
.Lfunc_end27:
	.size	_ZN4vllm3moe17topkGatingSoftmaxILi2ELi2ELi4ELi8ELi32EjEEvPKfPKbPfiPT4_Piiii, .Lfunc_end27-_ZN4vllm3moe17topkGatingSoftmaxILi2ELi2ELi4ELi8ELi32EjEEvPKfPKbPfiPT4_Piiii
                                        ; -- End function
	.section	.AMDGPU.csdata,"",@progbits
; Kernel info:
; codeLenInByte = 856
; NumSgprs: 18
; NumVgprs: 12
; ScratchSize: 0
; MemoryBound: 0
; FloatMode: 240
; IeeeMode: 1
; LDSByteSize: 0 bytes/workgroup (compile time only)
; SGPRBlocks: 2
; VGPRBlocks: 1
; NumSGPRsForWavesPerEU: 18
; NumVGPRsForWavesPerEU: 12
; Occupancy: 16
; WaveLimiterHint : 0
; COMPUTE_PGM_RSRC2:SCRATCH_EN: 0
; COMPUTE_PGM_RSRC2:USER_SGPR: 15
; COMPUTE_PGM_RSRC2:TRAP_HANDLER: 0
; COMPUTE_PGM_RSRC2:TGID_X_EN: 1
; COMPUTE_PGM_RSRC2:TGID_Y_EN: 0
; COMPUTE_PGM_RSRC2:TGID_Z_EN: 0
; COMPUTE_PGM_RSRC2:TIDIG_COMP_CNT: 1
	.section	.text._ZN4vllm3moe17topkGatingSoftmaxILi4ELi4ELi4ELi16ELi64EjEEvPKfPKbPfiPT4_Piiii,"axG",@progbits,_ZN4vllm3moe17topkGatingSoftmaxILi4ELi4ELi4ELi16ELi64EjEEvPKfPKbPfiPT4_Piiii,comdat
	.protected	_ZN4vllm3moe17topkGatingSoftmaxILi4ELi4ELi4ELi16ELi64EjEEvPKfPKbPfiPT4_Piiii ; -- Begin function _ZN4vllm3moe17topkGatingSoftmaxILi4ELi4ELi4ELi16ELi64EjEEvPKfPKbPfiPT4_Piiii
	.globl	_ZN4vllm3moe17topkGatingSoftmaxILi4ELi4ELi4ELi16ELi64EjEEvPKfPKbPfiPT4_Piiii
	.p2align	8
	.type	_ZN4vllm3moe17topkGatingSoftmaxILi4ELi4ELi4ELi16ELi64EjEEvPKfPKbPfiPT4_Piiii,@function
_ZN4vllm3moe17topkGatingSoftmaxILi4ELi4ELi4ELi16ELi64EjEEvPKfPKbPfiPT4_Piiii: ; @_ZN4vllm3moe17topkGatingSoftmaxILi4ELi4ELi4ELi16ELi64EjEEvPKfPKbPfiPT4_Piiii
; %bb.0:
	s_load_b32 s10, s[2:3], 0x18
	v_bfe_u32 v1, v0, 10, 10
	v_and_b32_e32 v2, 0x3ff, v0
	s_lshl_b32 s4, s15, 8
	s_delay_alu instid0(VALU_DEP_2) | instskip(NEXT) | instid1(VALU_DEP_1)
	v_lshlrev_b32_e32 v3, 6, v1
	v_add3_u32 v6, v3, v2, s4
	s_mov_b32 s4, exec_lo
	s_waitcnt lgkmcnt(0)
	s_delay_alu instid0(VALU_DEP_1)
	v_cmpx_gt_i32_e64 s10, v6
	s_cbranch_execz .LBB28_9
; %bb.1:
	s_clause 0x1
	s_load_b128 s[4:7], s[2:3], 0x0
	s_load_b64 s[8:9], s[2:3], 0x10
	s_waitcnt lgkmcnt(0)
	s_cmp_eq_u64 s[6:7], 0
	s_cbranch_scc1 .LBB28_3
; %bb.2:
	v_ashrrev_i32_e32 v4, 31, v6
	v_add_co_u32 v3, vcc_lo, s6, v6
	s_delay_alu instid0(VALU_DEP_2) | instskip(SKIP_3) | instid1(VALU_DEP_1)
	v_add_co_ci_u32_e32 v4, vcc_lo, s7, v4, vcc_lo
	global_load_u8 v3, v[3:4], off
	s_waitcnt vmcnt(0)
	v_and_b32_e32 v3, 1, v3
	v_cmp_eq_u32_e32 vcc_lo, 1, v3
	s_xor_b32 s6, vcc_lo, -1
	s_delay_alu instid0(SALU_CYCLE_1)
	s_or_not1_b32 s11, s6, exec_lo
	s_branch .LBB28_4
.LBB28_3:
	s_mov_b32 s11, -1
.LBB28_4:
	v_lshlrev_b32_e32 v3, 2, v6
	s_load_b64 s[0:1], s[0:1], 0x4
	v_bfe_u32 v0, v0, 20, 10
	s_delay_alu instid0(VALU_DEP_2) | instskip(NEXT) | instid1(VALU_DEP_1)
	v_ashrrev_i32_e32 v4, 31, v3
	v_lshlrev_b64 v[3:4], 2, v[3:4]
	s_delay_alu instid0(VALU_DEP_1) | instskip(NEXT) | instid1(VALU_DEP_2)
	v_add_co_u32 v3, vcc_lo, s4, v3
	v_add_co_ci_u32_e32 v4, vcc_lo, s5, v4, vcc_lo
	s_load_b128 s[4:7], s[2:3], 0x30
	s_waitcnt lgkmcnt(0)
	s_lshr_b32 s0, s0, 16
	s_delay_alu instid0(SALU_CYCLE_1) | instskip(SKIP_2) | instid1(VALU_DEP_1)
	s_mul_i32 s0, s0, s1
	global_load_b128 v[7:10], v[3:4], off
	v_mul_lo_u32 v2, s0, v2
	v_mad_u32_u24 v1, v1, s1, v2
	s_mov_b32 s1, 0
	s_cmp_lt_i32 s4, 1
	s_waitcnt vmcnt(0)
	v_dual_max_f32 v4, v7, v7 :: v_dual_max_f32 v3, v8, v8
	s_delay_alu instid0(VALU_DEP_1) | instskip(NEXT) | instid1(VALU_DEP_1)
	v_max_f32_e32 v3, v4, v3
	v_max3_f32 v3, v3, v9, v10
	s_delay_alu instid0(VALU_DEP_1) | instskip(SKIP_2) | instid1(VALU_DEP_2)
	v_sub_f32_e32 v5, v8, v3
	v_sub_f32_e32 v4, v7, v3
	;; [unrolled: 1-line block ×3, first 2 shown]
	v_dual_mul_f32 v9, 0x3fb8aa3b, v5 :: v_dual_mul_f32 v8, 0x3fb8aa3b, v4
	v_cmp_ngt_f32_e32 vcc_lo, 0xc2ce8ed0, v4
	s_delay_alu instid0(VALU_DEP_2) | instskip(NEXT) | instid1(VALU_DEP_3)
	v_rndne_f32_e32 v15, v9
	v_fma_f32 v12, 0x3fb8aa3b, v4, -v8
	v_rndne_f32_e32 v13, v8
	s_delay_alu instid0(VALU_DEP_2) | instskip(NEXT) | instid1(VALU_DEP_2)
	v_fmac_f32_e32 v12, 0x32a5705f, v4
	v_sub_f32_e32 v8, v8, v13
	v_fma_f32 v14, 0x3fb8aa3b, v5, -v9
	v_sub_f32_e32 v3, v10, v3
	v_mul_f32_e32 v10, 0x3fb8aa3b, v7
	s_delay_alu instid0(VALU_DEP_4) | instskip(NEXT) | instid1(VALU_DEP_4)
	v_dual_sub_f32 v9, v9, v15 :: v_dual_add_f32 v8, v8, v12
	v_fmac_f32_e32 v14, 0x32a5705f, v5
	v_cvt_i32_f32_e32 v12, v13
	s_delay_alu instid0(VALU_DEP_4)
	v_fma_f32 v16, 0x3fb8aa3b, v7, -v10
	v_rndne_f32_e32 v17, v10
	v_mul_f32_e32 v11, 0x3fb8aa3b, v3
	v_add_f32_e32 v9, v9, v14
	v_exp_f32_e32 v8, v8
	v_fmac_f32_e32 v16, 0x32a5705f, v7
	v_sub_f32_e32 v10, v10, v17
	v_rndne_f32_e32 v19, v11
	v_fma_f32 v18, 0x3fb8aa3b, v3, -v11
	v_exp_f32_e32 v9, v9
	v_cvt_i32_f32_e32 v13, v15
	s_delay_alu instid0(VALU_DEP_3) | instskip(SKIP_1) | instid1(TRANS32_DEP_2)
	v_dual_add_f32 v10, v10, v16 :: v_dual_sub_f32 v11, v11, v19
	v_cvt_i32_f32_e32 v14, v17
	v_ldexp_f32 v8, v8, v12
	v_cvt_i32_f32_e32 v15, v19
	s_delay_alu instid0(VALU_DEP_4) | instskip(NEXT) | instid1(TRANS32_DEP_2)
	v_exp_f32_e32 v10, v10
	v_ldexp_f32 v9, v9, v13
	s_delay_alu instid0(VALU_DEP_3) | instskip(SKIP_1) | instid1(VALU_DEP_3)
	v_cndmask_b32_e32 v8, 0, v8, vcc_lo
	v_cmp_ngt_f32_e32 vcc_lo, 0xc2ce8ed0, v5
	v_dual_fmac_f32 v18, 0x32a5705f, v3 :: v_dual_cndmask_b32 v9, 0, v9
	s_waitcnt_depctr 0xfff
	v_ldexp_f32 v10, v10, v14
	v_cmp_ngt_f32_e32 vcc_lo, 0xc2ce8ed0, v7
	s_delay_alu instid0(VALU_DEP_2) | instskip(SKIP_2) | instid1(VALU_DEP_1)
	v_cndmask_b32_e32 v10, 0, v10, vcc_lo
	v_cmp_nlt_f32_e32 vcc_lo, 0x42b17218, v4
	v_dual_add_f32 v11, v11, v18 :: v_dual_cndmask_b32 v4, 0x7f800000, v8
	v_exp_f32_e32 v11, v11
	v_cmp_nlt_f32_e32 vcc_lo, 0x42b17218, v5
	v_cndmask_b32_e32 v5, 0x7f800000, v9, vcc_lo
	v_cmp_ngt_f32_e32 vcc_lo, 0xc2ce8ed0, v3
	s_waitcnt_depctr 0xfff
	v_ldexp_f32 v11, v11, v15
	s_delay_alu instid0(VALU_DEP_1) | instskip(SKIP_4) | instid1(VALU_DEP_2)
	v_cndmask_b32_e32 v8, 0, v11, vcc_lo
	v_cmp_nlt_f32_e32 vcc_lo, 0x42b17218, v7
	v_add_f32_e32 v7, v4, v5
	v_cndmask_b32_e32 v9, 0x7f800000, v10, vcc_lo
	v_cmp_nlt_f32_e32 vcc_lo, 0x42b17218, v3
	v_add_f32_e32 v7, v7, v9
	v_cndmask_b32_e32 v3, 0x7f800000, v8, vcc_lo
	s_delay_alu instid0(VALU_DEP_1) | instskip(NEXT) | instid1(VALU_DEP_1)
	v_add_f32_e32 v7, v7, v3
	v_div_scale_f32 v8, null, v7, v7, 1.0
	v_div_scale_f32 v12, vcc_lo, 1.0, v7, 1.0
	s_delay_alu instid0(VALU_DEP_2) | instskip(SKIP_2) | instid1(VALU_DEP_1)
	v_rcp_f32_e32 v10, v8
	s_waitcnt_depctr 0xfff
	v_fma_f32 v11, -v8, v10, 1.0
	v_fmac_f32_e32 v10, v11, v10
	s_delay_alu instid0(VALU_DEP_1) | instskip(NEXT) | instid1(VALU_DEP_1)
	v_mul_f32_e32 v11, v12, v10
	v_fma_f32 v13, -v8, v11, v12
	s_delay_alu instid0(VALU_DEP_1) | instskip(NEXT) | instid1(VALU_DEP_1)
	v_fmac_f32_e32 v11, v13, v10
	v_fma_f32 v8, -v8, v11, v12
	s_delay_alu instid0(VALU_DEP_1) | instskip(NEXT) | instid1(VALU_DEP_1)
	v_div_fmas_f32 v8, v8, v10, v11
	v_div_fixup_f32 v8, v8, v7, 1.0
	v_add_lshl_u32 v7, v1, v0, 4
	s_delay_alu instid0(VALU_DEP_2)
	v_mul_f32_e32 v0, v8, v4
	v_mul_f32_e32 v2, v8, v9
	;; [unrolled: 1-line block ×4, first 2 shown]
	ds_store_b128 v7, v[0:3]
	s_cbranch_scc1 .LBB28_9
; %bb.5:
	v_mul_lo_u32 v0, v6, s4
	s_load_b128 s[12:15], s[2:3], 0x20
	v_mov_b32_e32 v8, 0xc61c4000
	s_delay_alu instid0(VALU_DEP_2) | instskip(NEXT) | instid1(VALU_DEP_1)
	v_ashrrev_i32_e32 v1, 31, v0
	v_lshlrev_b64 v[4:5], 2, v[0:1]
	s_delay_alu instid0(VALU_DEP_1) | instskip(NEXT) | instid1(VALU_DEP_2)
	v_add_co_u32 v0, vcc_lo, s8, v4
	v_add_co_ci_u32_e32 v1, vcc_lo, s9, v5, vcc_lo
	s_waitcnt lgkmcnt(0)
	v_add_co_u32 v2, vcc_lo, s12, v4
	v_add_co_ci_u32_e32 v3, vcc_lo, s13, v5, vcc_lo
	v_add_co_u32 v4, vcc_lo, s14, v4
	v_add_co_ci_u32_e32 v5, vcc_lo, s15, v5, vcc_lo
	s_set_inst_prefetch_distance 0x1
	s_branch .LBB28_7
	.p2align	6
.LBB28_6:                               ;   in Loop: Header=BB28_7 Depth=1
	v_add_co_u32 v0, vcc_lo, v0, 4
	v_add_co_ci_u32_e32 v1, vcc_lo, 0, v1, vcc_lo
	v_add_co_u32 v2, vcc_lo, v2, 4
	v_add_co_ci_u32_e32 v3, vcc_lo, 0, v3, vcc_lo
	v_add_co_u32 v4, vcc_lo, v4, 4
	v_add_nc_u32_e32 v6, s10, v6
	v_add_co_ci_u32_e32 v5, vcc_lo, 0, v5, vcc_lo
	s_cmp_lg_u32 s4, s1
	s_cbranch_scc0 .LBB28_9
.LBB28_7:                               ; =>This Inner Loop Header: Depth=1
	ds_load_b128 v[9:12], v7
	s_add_i32 s1, s1, 1
	s_waitcnt lgkmcnt(0)
	v_cmp_gt_f32_e32 vcc_lo, v10, v9
	v_cndmask_b32_e32 v9, v9, v10, vcc_lo
	v_cndmask_b32_e64 v10, 0, 1, vcc_lo
	s_delay_alu instid0(VALU_DEP_2) | instskip(SKIP_1) | instid1(VALU_DEP_3)
	v_cmp_gt_f32_e32 vcc_lo, v11, v9
	v_cndmask_b32_e32 v9, v9, v11, vcc_lo
	v_cndmask_b32_e64 v10, v10, 2, vcc_lo
	s_delay_alu instid0(VALU_DEP_2) | instskip(SKIP_1) | instid1(VALU_DEP_3)
	v_cmp_gt_f32_e32 vcc_lo, v12, v9
	v_cndmask_b32_e32 v11, v9, v12, vcc_lo
	v_cndmask_b32_e64 v9, v10, 3, vcc_lo
	global_store_b32 v[0:1], v11, off
	v_cmp_le_i32_e32 vcc_lo, s5, v9
	v_cmp_gt_i32_e64 s0, s6, v9
	v_subrev_nc_u32_e32 v10, s5, v9
	s_delay_alu instid0(VALU_DEP_2) | instskip(NEXT) | instid1(SALU_CYCLE_1)
	s_and_b32 s0, vcc_lo, s0
	s_and_b32 vcc_lo, s11, s0
	s_cmp_ge_i32 s1, s4
	s_delay_alu instid0(VALU_DEP_1)
	v_cndmask_b32_e32 v10, 4, v10, vcc_lo
	global_store_b32 v[2:3], v10, off
	global_store_b32 v[4:5], v6, off
	s_cbranch_scc1 .LBB28_6
; %bb.8:                                ;   in Loop: Header=BB28_7 Depth=1
	v_lshl_add_u32 v9, v9, 2, v7
	ds_store_b32 v9, v8
	s_branch .LBB28_6
.LBB28_9:
	s_set_inst_prefetch_distance 0x2
	s_nop 0
	s_sendmsg sendmsg(MSG_DEALLOC_VGPRS)
	s_endpgm
	.section	.rodata,"a",@progbits
	.p2align	6, 0x0
	.amdhsa_kernel _ZN4vllm3moe17topkGatingSoftmaxILi4ELi4ELi4ELi16ELi64EjEEvPKfPKbPfiPT4_Piiii
		.amdhsa_group_segment_fixed_size 4096
		.amdhsa_private_segment_fixed_size 0
		.amdhsa_kernarg_size 60
		.amdhsa_user_sgpr_count 15
		.amdhsa_user_sgpr_dispatch_ptr 1
		.amdhsa_user_sgpr_queue_ptr 0
		.amdhsa_user_sgpr_kernarg_segment_ptr 1
		.amdhsa_user_sgpr_dispatch_id 0
		.amdhsa_user_sgpr_private_segment_size 0
		.amdhsa_wavefront_size32 1
		.amdhsa_uses_dynamic_stack 0
		.amdhsa_enable_private_segment 0
		.amdhsa_system_sgpr_workgroup_id_x 1
		.amdhsa_system_sgpr_workgroup_id_y 0
		.amdhsa_system_sgpr_workgroup_id_z 0
		.amdhsa_system_sgpr_workgroup_info 0
		.amdhsa_system_vgpr_workitem_id 2
		.amdhsa_next_free_vgpr 20
		.amdhsa_next_free_sgpr 16
		.amdhsa_reserve_vcc 1
		.amdhsa_float_round_mode_32 0
		.amdhsa_float_round_mode_16_64 0
		.amdhsa_float_denorm_mode_32 3
		.amdhsa_float_denorm_mode_16_64 3
		.amdhsa_dx10_clamp 1
		.amdhsa_ieee_mode 1
		.amdhsa_fp16_overflow 0
		.amdhsa_workgroup_processor_mode 1
		.amdhsa_memory_ordered 1
		.amdhsa_forward_progress 0
		.amdhsa_shared_vgpr_count 0
		.amdhsa_exception_fp_ieee_invalid_op 0
		.amdhsa_exception_fp_denorm_src 0
		.amdhsa_exception_fp_ieee_div_zero 0
		.amdhsa_exception_fp_ieee_overflow 0
		.amdhsa_exception_fp_ieee_underflow 0
		.amdhsa_exception_fp_ieee_inexact 0
		.amdhsa_exception_int_div_zero 0
	.end_amdhsa_kernel
	.section	.text._ZN4vllm3moe17topkGatingSoftmaxILi4ELi4ELi4ELi16ELi64EjEEvPKfPKbPfiPT4_Piiii,"axG",@progbits,_ZN4vllm3moe17topkGatingSoftmaxILi4ELi4ELi4ELi16ELi64EjEEvPKfPKbPfiPT4_Piiii,comdat
.Lfunc_end28:
	.size	_ZN4vllm3moe17topkGatingSoftmaxILi4ELi4ELi4ELi16ELi64EjEEvPKfPKbPfiPT4_Piiii, .Lfunc_end28-_ZN4vllm3moe17topkGatingSoftmaxILi4ELi4ELi4ELi16ELi64EjEEvPKfPKbPfiPT4_Piiii
                                        ; -- End function
	.section	.AMDGPU.csdata,"",@progbits
; Kernel info:
; codeLenInByte = 1156
; NumSgprs: 18
; NumVgprs: 20
; ScratchSize: 0
; MemoryBound: 0
; FloatMode: 240
; IeeeMode: 1
; LDSByteSize: 4096 bytes/workgroup (compile time only)
; SGPRBlocks: 2
; VGPRBlocks: 2
; NumSGPRsForWavesPerEU: 18
; NumVGPRsForWavesPerEU: 20
; Occupancy: 16
; WaveLimiterHint : 0
; COMPUTE_PGM_RSRC2:SCRATCH_EN: 0
; COMPUTE_PGM_RSRC2:USER_SGPR: 15
; COMPUTE_PGM_RSRC2:TRAP_HANDLER: 0
; COMPUTE_PGM_RSRC2:TGID_X_EN: 1
; COMPUTE_PGM_RSRC2:TGID_Y_EN: 0
; COMPUTE_PGM_RSRC2:TGID_Z_EN: 0
; COMPUTE_PGM_RSRC2:TIDIG_COMP_CNT: 2
	.section	.text._ZN4vllm3moe17topkGatingSoftmaxILi4ELi4ELi4ELi16ELi32EjEEvPKfPKbPfiPT4_Piiii,"axG",@progbits,_ZN4vllm3moe17topkGatingSoftmaxILi4ELi4ELi4ELi16ELi32EjEEvPKfPKbPfiPT4_Piiii,comdat
	.protected	_ZN4vllm3moe17topkGatingSoftmaxILi4ELi4ELi4ELi16ELi32EjEEvPKfPKbPfiPT4_Piiii ; -- Begin function _ZN4vllm3moe17topkGatingSoftmaxILi4ELi4ELi4ELi16ELi32EjEEvPKfPKbPfiPT4_Piiii
	.globl	_ZN4vllm3moe17topkGatingSoftmaxILi4ELi4ELi4ELi16ELi32EjEEvPKfPKbPfiPT4_Piiii
	.p2align	8
	.type	_ZN4vllm3moe17topkGatingSoftmaxILi4ELi4ELi4ELi16ELi32EjEEvPKfPKbPfiPT4_Piiii,@function
_ZN4vllm3moe17topkGatingSoftmaxILi4ELi4ELi4ELi16ELi32EjEEvPKfPKbPfiPT4_Piiii: ; @_ZN4vllm3moe17topkGatingSoftmaxILi4ELi4ELi4ELi16ELi32EjEEvPKfPKbPfiPT4_Piiii
; %bb.0:
	s_load_b32 s10, s[2:3], 0x18
	v_bfe_u32 v2, v0, 10, 10
	v_and_b32_e32 v1, 0x3ff, v0
	s_lshl_b32 s4, s15, 7
	s_delay_alu instid0(VALU_DEP_2) | instskip(NEXT) | instid1(VALU_DEP_1)
	v_lshlrev_b32_e32 v3, 5, v2
	v_add3_u32 v6, v3, v1, s4
	s_mov_b32 s4, exec_lo
	s_waitcnt lgkmcnt(0)
	s_delay_alu instid0(VALU_DEP_1)
	v_cmpx_gt_i32_e64 s10, v6
	s_cbranch_execz .LBB29_9
; %bb.1:
	s_clause 0x1
	s_load_b128 s[4:7], s[2:3], 0x0
	s_load_b64 s[8:9], s[2:3], 0x10
	s_waitcnt lgkmcnt(0)
	s_cmp_eq_u64 s[6:7], 0
	s_cbranch_scc1 .LBB29_3
; %bb.2:
	v_ashrrev_i32_e32 v4, 31, v6
	v_add_co_u32 v3, vcc_lo, s6, v6
	s_delay_alu instid0(VALU_DEP_2) | instskip(SKIP_3) | instid1(VALU_DEP_1)
	v_add_co_ci_u32_e32 v4, vcc_lo, s7, v4, vcc_lo
	global_load_u8 v3, v[3:4], off
	s_waitcnt vmcnt(0)
	v_and_b32_e32 v3, 1, v3
	v_cmp_eq_u32_e32 vcc_lo, 1, v3
	s_xor_b32 s6, vcc_lo, -1
	s_delay_alu instid0(SALU_CYCLE_1)
	s_or_not1_b32 s11, s6, exec_lo
	s_branch .LBB29_4
.LBB29_3:
	s_mov_b32 s11, -1
.LBB29_4:
	v_lshlrev_b32_e32 v3, 2, v6
	s_load_b64 s[0:1], s[0:1], 0x4
	v_bfe_u32 v0, v0, 20, 10
	s_delay_alu instid0(VALU_DEP_2) | instskip(NEXT) | instid1(VALU_DEP_1)
	v_ashrrev_i32_e32 v4, 31, v3
	v_lshlrev_b64 v[3:4], 2, v[3:4]
	s_delay_alu instid0(VALU_DEP_1) | instskip(NEXT) | instid1(VALU_DEP_2)
	v_add_co_u32 v3, vcc_lo, s4, v3
	v_add_co_ci_u32_e32 v4, vcc_lo, s5, v4, vcc_lo
	s_load_b128 s[4:7], s[2:3], 0x30
	s_waitcnt lgkmcnt(0)
	v_mul_u32_u24_e32 v2, s1, v2
	s_lshr_b32 s0, s0, 16
	global_load_b128 v[7:10], v[3:4], off
	s_mul_i32 s0, s0, s1
	s_mov_b32 s1, 0
	v_mad_u32_u24 v1, s0, v1, v2
	s_cmp_lt_i32 s4, 1
	s_waitcnt vmcnt(0)
	v_dual_max_f32 v4, v7, v7 :: v_dual_max_f32 v3, v8, v8
	s_delay_alu instid0(VALU_DEP_1) | instskip(NEXT) | instid1(VALU_DEP_1)
	v_max_f32_e32 v3, v4, v3
	v_max3_f32 v3, v3, v9, v10
	s_delay_alu instid0(VALU_DEP_1) | instskip(SKIP_2) | instid1(VALU_DEP_2)
	v_sub_f32_e32 v5, v8, v3
	v_sub_f32_e32 v4, v7, v3
	v_sub_f32_e32 v7, v9, v3
	v_dual_mul_f32 v9, 0x3fb8aa3b, v5 :: v_dual_mul_f32 v8, 0x3fb8aa3b, v4
	v_cmp_ngt_f32_e32 vcc_lo, 0xc2ce8ed0, v4
	s_delay_alu instid0(VALU_DEP_2) | instskip(NEXT) | instid1(VALU_DEP_3)
	v_rndne_f32_e32 v15, v9
	v_fma_f32 v12, 0x3fb8aa3b, v4, -v8
	v_rndne_f32_e32 v13, v8
	s_delay_alu instid0(VALU_DEP_2) | instskip(NEXT) | instid1(VALU_DEP_2)
	v_fmac_f32_e32 v12, 0x32a5705f, v4
	v_sub_f32_e32 v8, v8, v13
	v_fma_f32 v14, 0x3fb8aa3b, v5, -v9
	v_sub_f32_e32 v3, v10, v3
	v_mul_f32_e32 v10, 0x3fb8aa3b, v7
	s_delay_alu instid0(VALU_DEP_4) | instskip(NEXT) | instid1(VALU_DEP_4)
	v_dual_sub_f32 v9, v9, v15 :: v_dual_add_f32 v8, v8, v12
	v_fmac_f32_e32 v14, 0x32a5705f, v5
	v_cvt_i32_f32_e32 v12, v13
	s_delay_alu instid0(VALU_DEP_4)
	v_fma_f32 v16, 0x3fb8aa3b, v7, -v10
	v_rndne_f32_e32 v17, v10
	v_mul_f32_e32 v11, 0x3fb8aa3b, v3
	v_add_f32_e32 v9, v9, v14
	v_exp_f32_e32 v8, v8
	v_fmac_f32_e32 v16, 0x32a5705f, v7
	v_sub_f32_e32 v10, v10, v17
	v_rndne_f32_e32 v19, v11
	v_fma_f32 v18, 0x3fb8aa3b, v3, -v11
	v_exp_f32_e32 v9, v9
	v_cvt_i32_f32_e32 v13, v15
	s_delay_alu instid0(VALU_DEP_3) | instskip(SKIP_1) | instid1(TRANS32_DEP_2)
	v_dual_add_f32 v10, v10, v16 :: v_dual_sub_f32 v11, v11, v19
	v_cvt_i32_f32_e32 v14, v17
	v_ldexp_f32 v8, v8, v12
	v_cvt_i32_f32_e32 v15, v19
	s_delay_alu instid0(VALU_DEP_4) | instskip(NEXT) | instid1(TRANS32_DEP_2)
	v_exp_f32_e32 v10, v10
	v_ldexp_f32 v9, v9, v13
	s_delay_alu instid0(VALU_DEP_3) | instskip(SKIP_1) | instid1(VALU_DEP_3)
	v_cndmask_b32_e32 v8, 0, v8, vcc_lo
	v_cmp_ngt_f32_e32 vcc_lo, 0xc2ce8ed0, v5
	v_dual_fmac_f32 v18, 0x32a5705f, v3 :: v_dual_cndmask_b32 v9, 0, v9
	s_waitcnt_depctr 0xfff
	v_ldexp_f32 v10, v10, v14
	v_cmp_ngt_f32_e32 vcc_lo, 0xc2ce8ed0, v7
	s_delay_alu instid0(VALU_DEP_2) | instskip(SKIP_2) | instid1(VALU_DEP_1)
	v_cndmask_b32_e32 v10, 0, v10, vcc_lo
	v_cmp_nlt_f32_e32 vcc_lo, 0x42b17218, v4
	v_dual_add_f32 v11, v11, v18 :: v_dual_cndmask_b32 v4, 0x7f800000, v8
	v_exp_f32_e32 v11, v11
	v_cmp_nlt_f32_e32 vcc_lo, 0x42b17218, v5
	v_cndmask_b32_e32 v5, 0x7f800000, v9, vcc_lo
	v_cmp_ngt_f32_e32 vcc_lo, 0xc2ce8ed0, v3
	s_waitcnt_depctr 0xfff
	v_ldexp_f32 v11, v11, v15
	s_delay_alu instid0(VALU_DEP_1) | instskip(SKIP_4) | instid1(VALU_DEP_2)
	v_cndmask_b32_e32 v8, 0, v11, vcc_lo
	v_cmp_nlt_f32_e32 vcc_lo, 0x42b17218, v7
	v_add_f32_e32 v7, v4, v5
	v_cndmask_b32_e32 v9, 0x7f800000, v10, vcc_lo
	v_cmp_nlt_f32_e32 vcc_lo, 0x42b17218, v3
	v_add_f32_e32 v7, v7, v9
	v_cndmask_b32_e32 v3, 0x7f800000, v8, vcc_lo
	s_delay_alu instid0(VALU_DEP_1) | instskip(NEXT) | instid1(VALU_DEP_1)
	v_add_f32_e32 v7, v7, v3
	v_div_scale_f32 v8, null, v7, v7, 1.0
	v_div_scale_f32 v12, vcc_lo, 1.0, v7, 1.0
	s_delay_alu instid0(VALU_DEP_2) | instskip(SKIP_2) | instid1(VALU_DEP_1)
	v_rcp_f32_e32 v10, v8
	s_waitcnt_depctr 0xfff
	v_fma_f32 v11, -v8, v10, 1.0
	v_fmac_f32_e32 v10, v11, v10
	s_delay_alu instid0(VALU_DEP_1) | instskip(NEXT) | instid1(VALU_DEP_1)
	v_mul_f32_e32 v11, v12, v10
	v_fma_f32 v13, -v8, v11, v12
	s_delay_alu instid0(VALU_DEP_1) | instskip(NEXT) | instid1(VALU_DEP_1)
	v_fmac_f32_e32 v11, v13, v10
	v_fma_f32 v8, -v8, v11, v12
	s_delay_alu instid0(VALU_DEP_1) | instskip(NEXT) | instid1(VALU_DEP_1)
	v_div_fmas_f32 v8, v8, v10, v11
	v_div_fixup_f32 v8, v8, v7, 1.0
	v_add_lshl_u32 v7, v1, v0, 4
	s_delay_alu instid0(VALU_DEP_2)
	v_mul_f32_e32 v0, v8, v4
	v_mul_f32_e32 v2, v8, v9
	;; [unrolled: 1-line block ×4, first 2 shown]
	ds_store_b128 v7, v[0:3]
	s_cbranch_scc1 .LBB29_9
; %bb.5:
	v_mul_lo_u32 v0, v6, s4
	s_load_b128 s[12:15], s[2:3], 0x20
	v_mov_b32_e32 v8, 0xc61c4000
	s_delay_alu instid0(VALU_DEP_2) | instskip(NEXT) | instid1(VALU_DEP_1)
	v_ashrrev_i32_e32 v1, 31, v0
	v_lshlrev_b64 v[4:5], 2, v[0:1]
	s_delay_alu instid0(VALU_DEP_1) | instskip(NEXT) | instid1(VALU_DEP_2)
	v_add_co_u32 v0, vcc_lo, s8, v4
	v_add_co_ci_u32_e32 v1, vcc_lo, s9, v5, vcc_lo
	s_waitcnt lgkmcnt(0)
	v_add_co_u32 v2, vcc_lo, s12, v4
	v_add_co_ci_u32_e32 v3, vcc_lo, s13, v5, vcc_lo
	v_add_co_u32 v4, vcc_lo, s14, v4
	v_add_co_ci_u32_e32 v5, vcc_lo, s15, v5, vcc_lo
	s_set_inst_prefetch_distance 0x1
	s_branch .LBB29_7
	.p2align	6
.LBB29_6:                               ;   in Loop: Header=BB29_7 Depth=1
	v_add_co_u32 v0, vcc_lo, v0, 4
	v_add_co_ci_u32_e32 v1, vcc_lo, 0, v1, vcc_lo
	v_add_co_u32 v2, vcc_lo, v2, 4
	v_add_co_ci_u32_e32 v3, vcc_lo, 0, v3, vcc_lo
	v_add_co_u32 v4, vcc_lo, v4, 4
	v_add_nc_u32_e32 v6, s10, v6
	v_add_co_ci_u32_e32 v5, vcc_lo, 0, v5, vcc_lo
	s_cmp_lg_u32 s4, s1
	s_cbranch_scc0 .LBB29_9
.LBB29_7:                               ; =>This Inner Loop Header: Depth=1
	ds_load_b128 v[9:12], v7
	s_add_i32 s1, s1, 1
	s_waitcnt lgkmcnt(0)
	v_cmp_gt_f32_e32 vcc_lo, v10, v9
	v_cndmask_b32_e32 v9, v9, v10, vcc_lo
	v_cndmask_b32_e64 v10, 0, 1, vcc_lo
	s_delay_alu instid0(VALU_DEP_2) | instskip(SKIP_1) | instid1(VALU_DEP_3)
	v_cmp_gt_f32_e32 vcc_lo, v11, v9
	v_cndmask_b32_e32 v9, v9, v11, vcc_lo
	v_cndmask_b32_e64 v10, v10, 2, vcc_lo
	s_delay_alu instid0(VALU_DEP_2) | instskip(SKIP_1) | instid1(VALU_DEP_3)
	v_cmp_gt_f32_e32 vcc_lo, v12, v9
	v_cndmask_b32_e32 v11, v9, v12, vcc_lo
	v_cndmask_b32_e64 v9, v10, 3, vcc_lo
	global_store_b32 v[0:1], v11, off
	v_cmp_le_i32_e32 vcc_lo, s5, v9
	v_cmp_gt_i32_e64 s0, s6, v9
	v_subrev_nc_u32_e32 v10, s5, v9
	s_delay_alu instid0(VALU_DEP_2) | instskip(NEXT) | instid1(SALU_CYCLE_1)
	s_and_b32 s0, vcc_lo, s0
	s_and_b32 vcc_lo, s11, s0
	s_cmp_ge_i32 s1, s4
	s_delay_alu instid0(VALU_DEP_1)
	v_cndmask_b32_e32 v10, 4, v10, vcc_lo
	global_store_b32 v[2:3], v10, off
	global_store_b32 v[4:5], v6, off
	s_cbranch_scc1 .LBB29_6
; %bb.8:                                ;   in Loop: Header=BB29_7 Depth=1
	v_lshl_add_u32 v9, v9, 2, v7
	ds_store_b32 v9, v8
	s_branch .LBB29_6
.LBB29_9:
	s_set_inst_prefetch_distance 0x2
	s_nop 0
	s_sendmsg sendmsg(MSG_DEALLOC_VGPRS)
	s_endpgm
	.section	.rodata,"a",@progbits
	.p2align	6, 0x0
	.amdhsa_kernel _ZN4vllm3moe17topkGatingSoftmaxILi4ELi4ELi4ELi16ELi32EjEEvPKfPKbPfiPT4_Piiii
		.amdhsa_group_segment_fixed_size 2048
		.amdhsa_private_segment_fixed_size 0
		.amdhsa_kernarg_size 60
		.amdhsa_user_sgpr_count 15
		.amdhsa_user_sgpr_dispatch_ptr 1
		.amdhsa_user_sgpr_queue_ptr 0
		.amdhsa_user_sgpr_kernarg_segment_ptr 1
		.amdhsa_user_sgpr_dispatch_id 0
		.amdhsa_user_sgpr_private_segment_size 0
		.amdhsa_wavefront_size32 1
		.amdhsa_uses_dynamic_stack 0
		.amdhsa_enable_private_segment 0
		.amdhsa_system_sgpr_workgroup_id_x 1
		.amdhsa_system_sgpr_workgroup_id_y 0
		.amdhsa_system_sgpr_workgroup_id_z 0
		.amdhsa_system_sgpr_workgroup_info 0
		.amdhsa_system_vgpr_workitem_id 2
		.amdhsa_next_free_vgpr 20
		.amdhsa_next_free_sgpr 16
		.amdhsa_reserve_vcc 1
		.amdhsa_float_round_mode_32 0
		.amdhsa_float_round_mode_16_64 0
		.amdhsa_float_denorm_mode_32 3
		.amdhsa_float_denorm_mode_16_64 3
		.amdhsa_dx10_clamp 1
		.amdhsa_ieee_mode 1
		.amdhsa_fp16_overflow 0
		.amdhsa_workgroup_processor_mode 1
		.amdhsa_memory_ordered 1
		.amdhsa_forward_progress 0
		.amdhsa_shared_vgpr_count 0
		.amdhsa_exception_fp_ieee_invalid_op 0
		.amdhsa_exception_fp_denorm_src 0
		.amdhsa_exception_fp_ieee_div_zero 0
		.amdhsa_exception_fp_ieee_overflow 0
		.amdhsa_exception_fp_ieee_underflow 0
		.amdhsa_exception_fp_ieee_inexact 0
		.amdhsa_exception_int_div_zero 0
	.end_amdhsa_kernel
	.section	.text._ZN4vllm3moe17topkGatingSoftmaxILi4ELi4ELi4ELi16ELi32EjEEvPKfPKbPfiPT4_Piiii,"axG",@progbits,_ZN4vllm3moe17topkGatingSoftmaxILi4ELi4ELi4ELi16ELi32EjEEvPKfPKbPfiPT4_Piiii,comdat
.Lfunc_end29:
	.size	_ZN4vllm3moe17topkGatingSoftmaxILi4ELi4ELi4ELi16ELi32EjEEvPKfPKbPfiPT4_Piiii, .Lfunc_end29-_ZN4vllm3moe17topkGatingSoftmaxILi4ELi4ELi4ELi16ELi32EjEEvPKfPKbPfiPT4_Piiii
                                        ; -- End function
	.section	.AMDGPU.csdata,"",@progbits
; Kernel info:
; codeLenInByte = 1148
; NumSgprs: 18
; NumVgprs: 20
; ScratchSize: 0
; MemoryBound: 0
; FloatMode: 240
; IeeeMode: 1
; LDSByteSize: 2048 bytes/workgroup (compile time only)
; SGPRBlocks: 2
; VGPRBlocks: 2
; NumSGPRsForWavesPerEU: 18
; NumVGPRsForWavesPerEU: 20
; Occupancy: 16
; WaveLimiterHint : 0
; COMPUTE_PGM_RSRC2:SCRATCH_EN: 0
; COMPUTE_PGM_RSRC2:USER_SGPR: 15
; COMPUTE_PGM_RSRC2:TRAP_HANDLER: 0
; COMPUTE_PGM_RSRC2:TGID_X_EN: 1
; COMPUTE_PGM_RSRC2:TGID_Y_EN: 0
; COMPUTE_PGM_RSRC2:TGID_Z_EN: 0
; COMPUTE_PGM_RSRC2:TIDIG_COMP_CNT: 2
	.section	.text._ZN4vllm3moe17topkGatingSoftmaxILi4ELi8ELi4ELi16ELi64EjEEvPKfPKbPfiPT4_Piiii,"axG",@progbits,_ZN4vllm3moe17topkGatingSoftmaxILi4ELi8ELi4ELi16ELi64EjEEvPKfPKbPfiPT4_Piiii,comdat
	.protected	_ZN4vllm3moe17topkGatingSoftmaxILi4ELi8ELi4ELi16ELi64EjEEvPKfPKbPfiPT4_Piiii ; -- Begin function _ZN4vllm3moe17topkGatingSoftmaxILi4ELi8ELi4ELi16ELi64EjEEvPKfPKbPfiPT4_Piiii
	.globl	_ZN4vllm3moe17topkGatingSoftmaxILi4ELi8ELi4ELi16ELi64EjEEvPKfPKbPfiPT4_Piiii
	.p2align	8
	.type	_ZN4vllm3moe17topkGatingSoftmaxILi4ELi8ELi4ELi16ELi64EjEEvPKfPKbPfiPT4_Piiii,@function
_ZN4vllm3moe17topkGatingSoftmaxILi4ELi8ELi4ELi16ELi64EjEEvPKfPKbPfiPT4_Piiii: ; @_ZN4vllm3moe17topkGatingSoftmaxILi4ELi8ELi4ELi16ELi64EjEEvPKfPKbPfiPT4_Piiii
; %bb.0:
	s_load_b32 s14, s[2:3], 0x18
	v_bfe_u32 v4, v0, 10, 10
	v_and_b32_e32 v5, 0x3ff, v0
	s_lshl_b32 s4, s15, 7
	s_delay_alu instid0(VALU_DEP_2) | instskip(NEXT) | instid1(VALU_DEP_2)
	v_lshlrev_b32_e32 v1, 5, v4
	v_lshrrev_b32_e32 v2, 1, v5
	s_delay_alu instid0(VALU_DEP_1) | instskip(SKIP_2) | instid1(VALU_DEP_1)
	v_add3_u32 v1, s4, v1, v2
	s_mov_b32 s4, exec_lo
	s_waitcnt lgkmcnt(0)
	v_cmpx_gt_i32_e64 s14, v1
	s_cbranch_execz .LBB30_14
; %bb.1:
	s_clause 0x1
	s_load_b128 s[4:7], s[2:3], 0x0
	s_load_b64 s[12:13], s[2:3], 0x10
	s_mov_b32 s15, -1
	s_waitcnt lgkmcnt(0)
	s_cmp_eq_u64 s[6:7], 0
	s_cbranch_scc1 .LBB30_3
; %bb.2:
	v_ashrrev_i32_e32 v3, 31, v1
	v_add_co_u32 v2, vcc_lo, s6, v1
	s_delay_alu instid0(VALU_DEP_2) | instskip(SKIP_3) | instid1(VALU_DEP_1)
	v_add_co_ci_u32_e32 v3, vcc_lo, s7, v3, vcc_lo
	global_load_u8 v2, v[2:3], off
	s_waitcnt vmcnt(0)
	v_and_b32_e32 v2, 1, v2
	v_cmp_eq_u32_e32 vcc_lo, 1, v2
	s_xor_b32 s6, vcc_lo, -1
	s_delay_alu instid0(SALU_CYCLE_1)
	s_or_not1_b32 s15, s6, exec_lo
.LBB30_3:
	v_lshlrev_b32_e32 v6, 3, v1
	v_and_b32_e32 v2, 1, v5
	s_load_b64 s[0:1], s[0:1], 0x4
	v_bfe_u32 v0, v0, 20, 10
	s_delay_alu instid0(VALU_DEP_3) | instskip(NEXT) | instid1(VALU_DEP_3)
	v_ashrrev_i32_e32 v7, 31, v6
	v_lshlrev_b32_e32 v3, 4, v2
	s_delay_alu instid0(VALU_DEP_2) | instskip(NEXT) | instid1(VALU_DEP_1)
	v_lshlrev_b64 v[6:7], 2, v[6:7]
	v_add_co_u32 v6, vcc_lo, s4, v6
	s_delay_alu instid0(VALU_DEP_2) | instskip(SKIP_1) | instid1(VALU_DEP_2)
	v_add_co_ci_u32_e32 v7, vcc_lo, s5, v7, vcc_lo
	s_load_b128 s[4:7], s[2:3], 0x30
	v_add_co_u32 v6, vcc_lo, v6, v3
	s_delay_alu instid0(VALU_DEP_2)
	v_add_co_ci_u32_e32 v7, vcc_lo, 0, v7, vcc_lo
	v_mbcnt_lo_u32_b32 v3, -1, 0
	s_waitcnt lgkmcnt(0)
	s_lshr_b32 s0, s0, 16
	s_mov_b32 s7, 0
	global_load_b128 v[6:9], v[6:7], off
	s_mul_i32 s0, s0, s1
	v_and_b32_e32 v10, 30, v3
	v_xor_b32_e32 v11, 1, v3
	v_mul_lo_u32 v5, s0, v5
	s_delay_alu instid0(VALU_DEP_3) | instskip(NEXT) | instid1(VALU_DEP_1)
	v_add_nc_u32_e32 v10, 2, v10
	v_cmp_lt_i32_e32 vcc_lo, v11, v10
	s_delay_alu instid0(VALU_DEP_3) | instskip(SKIP_2) | instid1(VALU_DEP_2)
	v_mad_u32_u24 v4, v4, s1, v5
	s_cmp_lt_i32 s4, 1
	v_cndmask_b32_e32 v3, v3, v11, vcc_lo
	v_add_lshl_u32 v0, v4, v0, 4
	s_delay_alu instid0(VALU_DEP_2) | instskip(SKIP_2) | instid1(VALU_DEP_1)
	v_lshlrev_b32_e32 v3, 2, v3
	s_waitcnt vmcnt(0)
	v_dual_max_f32 v12, v7, v7 :: v_dual_max_f32 v13, v6, v6
	v_max_f32_e32 v10, v13, v12
	s_delay_alu instid0(VALU_DEP_1) | instskip(SKIP_3) | instid1(VALU_DEP_1)
	v_max3_f32 v10, v10, v8, v9
	ds_bpermute_b32 v11, v3, v10
	s_waitcnt lgkmcnt(0)
	v_max_f32_e32 v11, v11, v11
	v_max_f32_e32 v10, v10, v11
	s_delay_alu instid0(VALU_DEP_1) | instskip(NEXT) | instid1(VALU_DEP_1)
	v_sub_f32_e32 v7, v7, v10
	v_mul_f32_e32 v11, 0x3fb8aa3b, v7
	s_delay_alu instid0(VALU_DEP_1) | instskip(SKIP_1) | instid1(VALU_DEP_2)
	v_rndne_f32_e32 v17, v11
	v_fma_f32 v16, 0x3fb8aa3b, v7, -v11
	v_sub_f32_e32 v11, v11, v17
	v_sub_f32_e32 v9, v9, v10
	s_delay_alu instid0(VALU_DEP_1) | instskip(NEXT) | instid1(VALU_DEP_1)
	v_dual_sub_f32 v8, v8, v10 :: v_dual_mul_f32 v13, 0x3fb8aa3b, v9
	v_mul_f32_e32 v12, 0x3fb8aa3b, v8
	v_fmac_f32_e32 v16, 0x32a5705f, v7
	s_delay_alu instid0(VALU_DEP_3) | instskip(SKIP_2) | instid1(VALU_DEP_4)
	v_rndne_f32_e32 v21, v13
	v_sub_f32_e32 v6, v6, v10
	v_fma_f32 v20, 0x3fb8aa3b, v9, -v13
	v_add_f32_e32 v11, v11, v16
	v_fma_f32 v18, 0x3fb8aa3b, v8, -v12
	s_delay_alu instid0(VALU_DEP_4) | instskip(SKIP_1) | instid1(VALU_DEP_4)
	v_dual_sub_f32 v13, v13, v21 :: v_dual_mul_f32 v10, 0x3fb8aa3b, v6
	v_rndne_f32_e32 v19, v12
	v_exp_f32_e32 v11, v11
	v_cmp_ngt_f32_e32 vcc_lo, 0xc2ce8ed0, v6
	v_fmac_f32_e32 v18, 0x32a5705f, v8
	v_fma_f32 v14, 0x3fb8aa3b, v6, -v10
	v_rndne_f32_e32 v15, v10
	v_sub_f32_e32 v12, v12, v19
	v_cvt_i32_f32_e32 v16, v19
	s_delay_alu instid0(VALU_DEP_4) | instskip(NEXT) | instid1(VALU_DEP_4)
	v_fmac_f32_e32 v14, 0x32a5705f, v6
	v_sub_f32_e32 v10, v10, v15
	v_fmac_f32_e32 v20, 0x32a5705f, v9
	s_delay_alu instid0(VALU_DEP_2) | instskip(SKIP_2) | instid1(VALU_DEP_4)
	v_add_f32_e32 v10, v10, v14
	v_cvt_i32_f32_e32 v14, v15
	v_cvt_i32_f32_e32 v15, v17
	v_add_f32_e32 v13, v13, v20
	v_cvt_i32_f32_e32 v17, v21
	v_exp_f32_e32 v10, v10
	s_delay_alu instid0(VALU_DEP_3) | instskip(NEXT) | instid1(VALU_DEP_3)
	v_ldexp_f32 v11, v11, v15
	v_exp_f32_e32 v13, v13
	s_waitcnt_depctr 0xfff
	v_ldexp_f32 v10, v10, v14
	v_ldexp_f32 v13, v13, v17
	s_delay_alu instid0(VALU_DEP_2) | instskip(SKIP_3) | instid1(VALU_DEP_2)
	v_cndmask_b32_e32 v10, 0, v10, vcc_lo
	v_cmp_ngt_f32_e32 vcc_lo, 0xc2ce8ed0, v7
	v_dual_cndmask_b32 v11, 0, v11 :: v_dual_add_f32 v12, v12, v18
	v_cmp_ngt_f32_e32 vcc_lo, 0xc2ce8ed0, v8
	v_exp_f32_e32 v12, v12
	s_waitcnt_depctr 0xfff
	v_ldexp_f32 v12, v12, v16
	s_delay_alu instid0(VALU_DEP_1)
	v_cndmask_b32_e32 v12, 0, v12, vcc_lo
	v_cmp_nlt_f32_e32 vcc_lo, 0x42b17218, v6
	v_cndmask_b32_e32 v6, 0x7f800000, v10, vcc_lo
	v_cmp_nlt_f32_e32 vcc_lo, 0x42b17218, v7
	v_cndmask_b32_e32 v7, 0x7f800000, v11, vcc_lo
	v_cmp_ngt_f32_e32 vcc_lo, 0xc2ce8ed0, v9
	s_delay_alu instid0(VALU_DEP_2) | instskip(SKIP_3) | instid1(VALU_DEP_2)
	v_dual_add_f32 v11, v6, v7 :: v_dual_cndmask_b32 v10, 0, v13
	v_cmp_nlt_f32_e32 vcc_lo, 0x42b17218, v8
	v_cndmask_b32_e32 v8, 0x7f800000, v12, vcc_lo
	v_cmp_nlt_f32_e32 vcc_lo, 0x42b17218, v9
	v_dual_cndmask_b32 v9, 0x7f800000, v10 :: v_dual_add_f32 v10, v11, v8
	s_delay_alu instid0(VALU_DEP_1) | instskip(SKIP_3) | instid1(VALU_DEP_1)
	v_add_f32_e32 v10, v10, v9
	ds_bpermute_b32 v11, v3, v10
	s_waitcnt lgkmcnt(0)
	v_add_f32_e32 v10, v10, v11
	v_div_scale_f32 v11, null, v10, v10, 1.0
	v_div_scale_f32 v14, vcc_lo, 1.0, v10, 1.0
	s_delay_alu instid0(VALU_DEP_2) | instskip(SKIP_2) | instid1(VALU_DEP_1)
	v_rcp_f32_e32 v12, v11
	s_waitcnt_depctr 0xfff
	v_fma_f32 v13, -v11, v12, 1.0
	v_fmac_f32_e32 v12, v13, v12
	s_delay_alu instid0(VALU_DEP_1) | instskip(NEXT) | instid1(VALU_DEP_1)
	v_mul_f32_e32 v13, v14, v12
	v_fma_f32 v15, -v11, v13, v14
	s_delay_alu instid0(VALU_DEP_1) | instskip(NEXT) | instid1(VALU_DEP_1)
	v_fmac_f32_e32 v13, v15, v12
	v_fma_f32 v11, -v11, v13, v14
	s_delay_alu instid0(VALU_DEP_1) | instskip(NEXT) | instid1(VALU_DEP_1)
	v_div_fmas_f32 v11, v11, v12, v13
	v_div_fixup_f32 v10, v11, v10, 1.0
	s_delay_alu instid0(VALU_DEP_1)
	v_mul_f32_e32 v5, v10, v7
	v_mul_f32_e32 v7, v10, v9
	;; [unrolled: 1-line block ×4, first 2 shown]
	ds_store_b128 v0, v[4:7]
	s_cbranch_scc1 .LBB30_14
; %bb.4:
	s_load_b128 s[8:11], s[2:3], 0x20
	v_mul_lo_u32 v4, v1, s4
	v_dual_mov_b32 v6, 0xc61c4000 :: v_dual_lshlrev_b32 v5, 2, v2
	v_cmp_eq_u32_e32 vcc_lo, 0, v2
	s_branch .LBB30_6
.LBB30_5:                               ;   in Loop: Header=BB30_6 Depth=1
	s_or_b32 exec_lo, exec_lo, s0
	v_add_nc_u32_e32 v1, s14, v1
	s_cmp_lg_u32 s4, s7
	s_cbranch_scc0 .LBB30_14
.LBB30_6:                               ; =>This Inner Loop Header: Depth=1
	ds_load_b128 v[7:10], v0
	s_mov_b32 s3, exec_lo
	s_waitcnt lgkmcnt(0)
	v_cmp_gt_f32_e64 s0, v8, v7
	s_delay_alu instid0(VALU_DEP_1) | instskip(SKIP_1) | instid1(VALU_DEP_2)
	v_cndmask_b32_e64 v7, v7, v8, s0
	v_cndmask_b32_e64 v8, 0, 1, s0
	v_cmp_gt_f32_e64 s0, v9, v7
	s_delay_alu instid0(VALU_DEP_1) | instskip(NEXT) | instid1(VALU_DEP_3)
	v_cndmask_b32_e64 v7, v7, v9, s0
	v_cndmask_b32_e64 v9, v8, 2, s0
	s_delay_alu instid0(VALU_DEP_2) | instskip(NEXT) | instid1(VALU_DEP_1)
	v_cmp_gt_f32_e64 s0, v10, v7
	v_cndmask_b32_e64 v8, v7, v10, s0
	s_delay_alu instid0(VALU_DEP_3)
	v_cndmask_b32_e64 v7, v9, 3, s0
	ds_bpermute_b32 v9, v3, v8
	v_or_b32_e32 v7, v5, v7
	ds_bpermute_b32 v10, v3, v7
	s_waitcnt lgkmcnt(1)
	v_cmp_lt_f32_e64 s2, v8, v9
	v_cmpx_nlt_f32_e32 v8, v9
	s_cbranch_execnz .LBB30_12
; %bb.7:                                ;   in Loop: Header=BB30_6 Depth=1
	s_or_b32 exec_lo, exec_lo, s3
	s_delay_alu instid0(VALU_DEP_2)
	s_and_saveexec_b32 s0, s2
	s_cbranch_execnz .LBB30_13
.LBB30_8:                               ;   in Loop: Header=BB30_6 Depth=1
	s_or_b32 exec_lo, exec_lo, s0
	s_and_saveexec_b32 s2, vcc_lo
	s_cbranch_execz .LBB30_10
.LBB30_9:                               ;   in Loop: Header=BB30_6 Depth=1
	v_add_nc_u32_e32 v9, s7, v4
	v_cmp_le_i32_e64 s0, s5, v7
	v_cmp_gt_i32_e64 s1, s6, v7
	v_subrev_nc_u32_e32 v11, s5, v7
	s_waitcnt lgkmcnt(0)
	v_ashrrev_i32_e32 v10, 31, v9
	s_delay_alu instid0(VALU_DEP_3) | instskip(NEXT) | instid1(SALU_CYCLE_1)
	s_and_b32 s0, s0, s1
	s_and_b32 s0, s15, s0
	s_delay_alu instid0(VALU_DEP_1) | instskip(SKIP_1) | instid1(VALU_DEP_2)
	v_lshlrev_b64 v[9:10], 2, v[9:10]
	v_cndmask_b32_e64 v15, 8, v11, s0
	v_add_co_u32 v11, s0, s12, v9
	s_delay_alu instid0(VALU_DEP_1) | instskip(SKIP_1) | instid1(VALU_DEP_1)
	v_add_co_ci_u32_e64 v12, s0, s13, v10, s0
	v_add_co_u32 v13, s0, s8, v9
	v_add_co_ci_u32_e64 v14, s0, s9, v10, s0
	v_add_co_u32 v9, s0, s10, v9
	s_delay_alu instid0(VALU_DEP_1)
	v_add_co_ci_u32_e64 v10, s0, s11, v10, s0
	global_store_b32 v[11:12], v8, off
	global_store_b32 v[13:14], v15, off
	;; [unrolled: 1-line block ×3, first 2 shown]
.LBB30_10:                              ;   in Loop: Header=BB30_6 Depth=1
	s_or_b32 exec_lo, exec_lo, s2
	v_ashrrev_i32_e32 v8, 31, v7
	s_add_i32 s7, s7, 1
	s_delay_alu instid0(SALU_CYCLE_1) | instskip(SKIP_1) | instid1(VALU_DEP_1)
	s_cmp_lt_i32 s7, s4
	s_cselect_b32 s1, -1, 0
	v_lshrrev_b32_e32 v9, 30, v8
	s_waitcnt lgkmcnt(0)
	s_delay_alu instid0(VALU_DEP_1) | instskip(NEXT) | instid1(VALU_DEP_1)
	v_add_nc_u32_e32 v10, v7, v9
	v_ashrrev_i32_e32 v9, 2, v10
	v_lshrrev_b32_e32 v10, 31, v10
	s_delay_alu instid0(VALU_DEP_1) | instskip(NEXT) | instid1(VALU_DEP_1)
	v_add_nc_u32_e32 v10, v9, v10
	v_and_b32_e32 v10, -2, v10
	s_delay_alu instid0(VALU_DEP_1) | instskip(NEXT) | instid1(VALU_DEP_1)
	v_sub_nc_u32_e32 v10, v9, v10
	v_cmp_eq_u32_e64 s0, v2, v10
	s_delay_alu instid0(VALU_DEP_1) | instskip(NEXT) | instid1(SALU_CYCLE_1)
	s_and_b32 s1, s1, s0
	s_and_saveexec_b32 s0, s1
	s_cbranch_execz .LBB30_5
; %bb.11:                               ;   in Loop: Header=BB30_6 Depth=1
	v_lshrrev_b32_e32 v8, 29, v8
	v_lshlrev_b32_e32 v9, 2, v9
	s_delay_alu instid0(VALU_DEP_2) | instskip(NEXT) | instid1(VALU_DEP_2)
	v_add_nc_u32_e32 v8, v7, v8
	v_sub_nc_u32_e32 v7, v7, v9
	s_delay_alu instid0(VALU_DEP_2) | instskip(NEXT) | instid1(VALU_DEP_1)
	v_lshrrev_b32_e32 v8, 1, v8
	v_and_b32_e32 v8, 0x7ffffffc, v8
	s_delay_alu instid0(VALU_DEP_1) | instskip(NEXT) | instid1(VALU_DEP_1)
	v_add_nc_u32_e32 v7, v8, v7
	v_lshl_add_u32 v7, v7, 2, v0
	ds_store_b32 v7, v6
	s_branch .LBB30_5
.LBB30_12:                              ;   in Loop: Header=BB30_6 Depth=1
	v_cmp_eq_f32_e64 s0, v8, v9
	s_waitcnt lgkmcnt(0)
	v_cmp_lt_i32_e64 s1, v10, v7
	s_delay_alu instid0(VALU_DEP_1) | instskip(SKIP_2) | instid1(SALU_CYCLE_1)
	s_and_b32 s0, s0, s1
	s_and_not1_b32 s1, s2, exec_lo
	s_and_b32 s0, s0, exec_lo
	s_or_b32 s2, s1, s0
	s_or_b32 exec_lo, exec_lo, s3
	s_and_saveexec_b32 s0, s2
	s_cbranch_execz .LBB30_8
.LBB30_13:                              ;   in Loop: Header=BB30_6 Depth=1
	s_waitcnt lgkmcnt(0)
	v_dual_mov_b32 v8, v9 :: v_dual_mov_b32 v7, v10
	s_or_b32 exec_lo, exec_lo, s0
	s_and_saveexec_b32 s2, vcc_lo
	s_cbranch_execnz .LBB30_9
	s_branch .LBB30_10
.LBB30_14:
	s_nop 0
	s_sendmsg sendmsg(MSG_DEALLOC_VGPRS)
	s_endpgm
	.section	.rodata,"a",@progbits
	.p2align	6, 0x0
	.amdhsa_kernel _ZN4vllm3moe17topkGatingSoftmaxILi4ELi8ELi4ELi16ELi64EjEEvPKfPKbPfiPT4_Piiii
		.amdhsa_group_segment_fixed_size 4096
		.amdhsa_private_segment_fixed_size 0
		.amdhsa_kernarg_size 60
		.amdhsa_user_sgpr_count 15
		.amdhsa_user_sgpr_dispatch_ptr 1
		.amdhsa_user_sgpr_queue_ptr 0
		.amdhsa_user_sgpr_kernarg_segment_ptr 1
		.amdhsa_user_sgpr_dispatch_id 0
		.amdhsa_user_sgpr_private_segment_size 0
		.amdhsa_wavefront_size32 1
		.amdhsa_uses_dynamic_stack 0
		.amdhsa_enable_private_segment 0
		.amdhsa_system_sgpr_workgroup_id_x 1
		.amdhsa_system_sgpr_workgroup_id_y 0
		.amdhsa_system_sgpr_workgroup_id_z 0
		.amdhsa_system_sgpr_workgroup_info 0
		.amdhsa_system_vgpr_workitem_id 2
		.amdhsa_next_free_vgpr 22
		.amdhsa_next_free_sgpr 16
		.amdhsa_reserve_vcc 1
		.amdhsa_float_round_mode_32 0
		.amdhsa_float_round_mode_16_64 0
		.amdhsa_float_denorm_mode_32 3
		.amdhsa_float_denorm_mode_16_64 3
		.amdhsa_dx10_clamp 1
		.amdhsa_ieee_mode 1
		.amdhsa_fp16_overflow 0
		.amdhsa_workgroup_processor_mode 1
		.amdhsa_memory_ordered 1
		.amdhsa_forward_progress 0
		.amdhsa_shared_vgpr_count 0
		.amdhsa_exception_fp_ieee_invalid_op 0
		.amdhsa_exception_fp_denorm_src 0
		.amdhsa_exception_fp_ieee_div_zero 0
		.amdhsa_exception_fp_ieee_overflow 0
		.amdhsa_exception_fp_ieee_underflow 0
		.amdhsa_exception_fp_ieee_inexact 0
		.amdhsa_exception_int_div_zero 0
	.end_amdhsa_kernel
	.section	.text._ZN4vllm3moe17topkGatingSoftmaxILi4ELi8ELi4ELi16ELi64EjEEvPKfPKbPfiPT4_Piiii,"axG",@progbits,_ZN4vllm3moe17topkGatingSoftmaxILi4ELi8ELi4ELi16ELi64EjEEvPKfPKbPfiPT4_Piiii,comdat
.Lfunc_end30:
	.size	_ZN4vllm3moe17topkGatingSoftmaxILi4ELi8ELi4ELi16ELi64EjEEvPKfPKbPfiPT4_Piiii, .Lfunc_end30-_ZN4vllm3moe17topkGatingSoftmaxILi4ELi8ELi4ELi16ELi64EjEEvPKfPKbPfiPT4_Piiii
                                        ; -- End function
	.section	.AMDGPU.csdata,"",@progbits
; Kernel info:
; codeLenInByte = 1568
; NumSgprs: 18
; NumVgprs: 22
; ScratchSize: 0
; MemoryBound: 0
; FloatMode: 240
; IeeeMode: 1
; LDSByteSize: 4096 bytes/workgroup (compile time only)
; SGPRBlocks: 2
; VGPRBlocks: 2
; NumSGPRsForWavesPerEU: 18
; NumVGPRsForWavesPerEU: 22
; Occupancy: 16
; WaveLimiterHint : 0
; COMPUTE_PGM_RSRC2:SCRATCH_EN: 0
; COMPUTE_PGM_RSRC2:USER_SGPR: 15
; COMPUTE_PGM_RSRC2:TRAP_HANDLER: 0
; COMPUTE_PGM_RSRC2:TGID_X_EN: 1
; COMPUTE_PGM_RSRC2:TGID_Y_EN: 0
; COMPUTE_PGM_RSRC2:TGID_Z_EN: 0
; COMPUTE_PGM_RSRC2:TIDIG_COMP_CNT: 2
	.section	.text._ZN4vllm3moe17topkGatingSoftmaxILi4ELi8ELi4ELi16ELi32EjEEvPKfPKbPfiPT4_Piiii,"axG",@progbits,_ZN4vllm3moe17topkGatingSoftmaxILi4ELi8ELi4ELi16ELi32EjEEvPKfPKbPfiPT4_Piiii,comdat
	.protected	_ZN4vllm3moe17topkGatingSoftmaxILi4ELi8ELi4ELi16ELi32EjEEvPKfPKbPfiPT4_Piiii ; -- Begin function _ZN4vllm3moe17topkGatingSoftmaxILi4ELi8ELi4ELi16ELi32EjEEvPKfPKbPfiPT4_Piiii
	.globl	_ZN4vllm3moe17topkGatingSoftmaxILi4ELi8ELi4ELi16ELi32EjEEvPKfPKbPfiPT4_Piiii
	.p2align	8
	.type	_ZN4vllm3moe17topkGatingSoftmaxILi4ELi8ELi4ELi16ELi32EjEEvPKfPKbPfiPT4_Piiii,@function
_ZN4vllm3moe17topkGatingSoftmaxILi4ELi8ELi4ELi16ELi32EjEEvPKfPKbPfiPT4_Piiii: ; @_ZN4vllm3moe17topkGatingSoftmaxILi4ELi8ELi4ELi16ELi32EjEEvPKfPKbPfiPT4_Piiii
; %bb.0:
	s_load_b32 s14, s[2:3], 0x18
	v_bfe_u32 v5, v0, 10, 10
	v_and_b32_e32 v4, 0x3ff, v0
	s_lshl_b32 s4, s15, 6
	s_delay_alu instid0(VALU_DEP_2) | instskip(NEXT) | instid1(VALU_DEP_2)
	v_lshlrev_b32_e32 v1, 4, v5
	v_lshrrev_b32_e32 v2, 1, v4
	s_delay_alu instid0(VALU_DEP_1) | instskip(SKIP_2) | instid1(VALU_DEP_1)
	v_add3_u32 v1, s4, v1, v2
	s_mov_b32 s4, exec_lo
	s_waitcnt lgkmcnt(0)
	v_cmpx_gt_i32_e64 s14, v1
	s_cbranch_execz .LBB31_14
; %bb.1:
	s_clause 0x1
	s_load_b128 s[4:7], s[2:3], 0x0
	s_load_b64 s[12:13], s[2:3], 0x10
	s_mov_b32 s15, -1
	s_waitcnt lgkmcnt(0)
	s_cmp_eq_u64 s[6:7], 0
	s_cbranch_scc1 .LBB31_3
; %bb.2:
	v_ashrrev_i32_e32 v3, 31, v1
	v_add_co_u32 v2, vcc_lo, s6, v1
	s_delay_alu instid0(VALU_DEP_2) | instskip(SKIP_3) | instid1(VALU_DEP_1)
	v_add_co_ci_u32_e32 v3, vcc_lo, s7, v3, vcc_lo
	global_load_u8 v2, v[2:3], off
	s_waitcnt vmcnt(0)
	v_and_b32_e32 v2, 1, v2
	v_cmp_eq_u32_e32 vcc_lo, 1, v2
	s_xor_b32 s6, vcc_lo, -1
	s_delay_alu instid0(SALU_CYCLE_1)
	s_or_not1_b32 s15, s6, exec_lo
.LBB31_3:
	v_lshlrev_b32_e32 v6, 3, v1
	v_and_b32_e32 v2, 1, v4
	s_load_b64 s[0:1], s[0:1], 0x4
	v_bfe_u32 v0, v0, 20, 10
	s_delay_alu instid0(VALU_DEP_3) | instskip(NEXT) | instid1(VALU_DEP_3)
	v_ashrrev_i32_e32 v7, 31, v6
	v_lshlrev_b32_e32 v3, 4, v2
	s_delay_alu instid0(VALU_DEP_2) | instskip(NEXT) | instid1(VALU_DEP_1)
	v_lshlrev_b64 v[6:7], 2, v[6:7]
	v_add_co_u32 v6, vcc_lo, s4, v6
	s_delay_alu instid0(VALU_DEP_2) | instskip(SKIP_1) | instid1(VALU_DEP_2)
	v_add_co_ci_u32_e32 v7, vcc_lo, s5, v7, vcc_lo
	s_load_b128 s[4:7], s[2:3], 0x30
	v_add_co_u32 v6, vcc_lo, v6, v3
	s_delay_alu instid0(VALU_DEP_2)
	v_add_co_ci_u32_e32 v7, vcc_lo, 0, v7, vcc_lo
	v_mbcnt_lo_u32_b32 v3, -1, 0
	s_waitcnt lgkmcnt(0)
	v_mul_u32_u24_e32 v5, s1, v5
	s_lshr_b32 s0, s0, 16
	global_load_b128 v[6:9], v[6:7], off
	s_mul_i32 s0, s0, s1
	v_and_b32_e32 v10, 30, v3
	v_xor_b32_e32 v11, 1, v3
	v_mad_u32_u24 v4, s0, v4, v5
	s_mov_b32 s7, 0
	s_delay_alu instid0(VALU_DEP_3) | instskip(NEXT) | instid1(VALU_DEP_2)
	v_add_nc_u32_e32 v10, 2, v10
	v_add_lshl_u32 v0, v4, v0, 4
	s_delay_alu instid0(VALU_DEP_2) | instskip(SKIP_2) | instid1(VALU_DEP_1)
	v_cmp_lt_i32_e32 vcc_lo, v11, v10
	s_cmp_lt_i32 s4, 1
	v_cndmask_b32_e32 v3, v3, v11, vcc_lo
	v_lshlrev_b32_e32 v3, 2, v3
	s_waitcnt vmcnt(0)
	v_dual_max_f32 v12, v7, v7 :: v_dual_max_f32 v13, v6, v6
	s_delay_alu instid0(VALU_DEP_1) | instskip(NEXT) | instid1(VALU_DEP_1)
	v_max_f32_e32 v10, v13, v12
	v_max3_f32 v10, v10, v8, v9
	ds_bpermute_b32 v11, v3, v10
	s_waitcnt lgkmcnt(0)
	v_max_f32_e32 v11, v11, v11
	s_delay_alu instid0(VALU_DEP_1) | instskip(NEXT) | instid1(VALU_DEP_1)
	v_max_f32_e32 v10, v10, v11
	v_sub_f32_e32 v7, v7, v10
	s_delay_alu instid0(VALU_DEP_1) | instskip(NEXT) | instid1(VALU_DEP_1)
	v_mul_f32_e32 v11, 0x3fb8aa3b, v7
	v_rndne_f32_e32 v17, v11
	v_fma_f32 v16, 0x3fb8aa3b, v7, -v11
	s_delay_alu instid0(VALU_DEP_2) | instskip(SKIP_1) | instid1(VALU_DEP_1)
	v_sub_f32_e32 v11, v11, v17
	v_sub_f32_e32 v9, v9, v10
	v_dual_sub_f32 v8, v8, v10 :: v_dual_mul_f32 v13, 0x3fb8aa3b, v9
	s_delay_alu instid0(VALU_DEP_1) | instskip(SKIP_1) | instid1(VALU_DEP_3)
	v_mul_f32_e32 v12, 0x3fb8aa3b, v8
	v_fmac_f32_e32 v16, 0x32a5705f, v7
	v_rndne_f32_e32 v21, v13
	v_sub_f32_e32 v6, v6, v10
	v_fma_f32 v20, 0x3fb8aa3b, v9, -v13
	s_delay_alu instid0(VALU_DEP_4) | instskip(SKIP_1) | instid1(VALU_DEP_4)
	v_add_f32_e32 v11, v11, v16
	v_fma_f32 v18, 0x3fb8aa3b, v8, -v12
	v_dual_sub_f32 v13, v13, v21 :: v_dual_mul_f32 v10, 0x3fb8aa3b, v6
	v_rndne_f32_e32 v19, v12
	s_delay_alu instid0(VALU_DEP_4)
	v_exp_f32_e32 v11, v11
	v_cmp_ngt_f32_e32 vcc_lo, 0xc2ce8ed0, v6
	v_fmac_f32_e32 v18, 0x32a5705f, v8
	v_fma_f32 v14, 0x3fb8aa3b, v6, -v10
	v_rndne_f32_e32 v15, v10
	v_sub_f32_e32 v12, v12, v19
	v_cvt_i32_f32_e32 v16, v19
	s_delay_alu instid0(VALU_DEP_4) | instskip(NEXT) | instid1(VALU_DEP_4)
	v_fmac_f32_e32 v14, 0x32a5705f, v6
	v_sub_f32_e32 v10, v10, v15
	v_fmac_f32_e32 v20, 0x32a5705f, v9
	s_delay_alu instid0(VALU_DEP_2) | instskip(SKIP_2) | instid1(VALU_DEP_4)
	v_add_f32_e32 v10, v10, v14
	v_cvt_i32_f32_e32 v14, v15
	v_cvt_i32_f32_e32 v15, v17
	v_add_f32_e32 v13, v13, v20
	v_cvt_i32_f32_e32 v17, v21
	v_exp_f32_e32 v10, v10
	s_delay_alu instid0(VALU_DEP_3) | instskip(NEXT) | instid1(VALU_DEP_3)
	v_ldexp_f32 v11, v11, v15
	v_exp_f32_e32 v13, v13
	s_waitcnt_depctr 0xfff
	v_ldexp_f32 v10, v10, v14
	v_ldexp_f32 v13, v13, v17
	s_delay_alu instid0(VALU_DEP_2) | instskip(SKIP_3) | instid1(VALU_DEP_2)
	v_cndmask_b32_e32 v10, 0, v10, vcc_lo
	v_cmp_ngt_f32_e32 vcc_lo, 0xc2ce8ed0, v7
	v_dual_cndmask_b32 v11, 0, v11 :: v_dual_add_f32 v12, v12, v18
	v_cmp_ngt_f32_e32 vcc_lo, 0xc2ce8ed0, v8
	v_exp_f32_e32 v12, v12
	s_waitcnt_depctr 0xfff
	v_ldexp_f32 v12, v12, v16
	s_delay_alu instid0(VALU_DEP_1)
	v_cndmask_b32_e32 v12, 0, v12, vcc_lo
	v_cmp_nlt_f32_e32 vcc_lo, 0x42b17218, v6
	v_cndmask_b32_e32 v6, 0x7f800000, v10, vcc_lo
	v_cmp_nlt_f32_e32 vcc_lo, 0x42b17218, v7
	v_cndmask_b32_e32 v7, 0x7f800000, v11, vcc_lo
	v_cmp_ngt_f32_e32 vcc_lo, 0xc2ce8ed0, v9
	s_delay_alu instid0(VALU_DEP_2) | instskip(SKIP_3) | instid1(VALU_DEP_2)
	v_dual_add_f32 v11, v6, v7 :: v_dual_cndmask_b32 v10, 0, v13
	v_cmp_nlt_f32_e32 vcc_lo, 0x42b17218, v8
	v_cndmask_b32_e32 v8, 0x7f800000, v12, vcc_lo
	v_cmp_nlt_f32_e32 vcc_lo, 0x42b17218, v9
	v_dual_cndmask_b32 v9, 0x7f800000, v10 :: v_dual_add_f32 v10, v11, v8
	s_delay_alu instid0(VALU_DEP_1) | instskip(SKIP_3) | instid1(VALU_DEP_1)
	v_add_f32_e32 v10, v10, v9
	ds_bpermute_b32 v11, v3, v10
	s_waitcnt lgkmcnt(0)
	v_add_f32_e32 v10, v10, v11
	v_div_scale_f32 v11, null, v10, v10, 1.0
	v_div_scale_f32 v14, vcc_lo, 1.0, v10, 1.0
	s_delay_alu instid0(VALU_DEP_2) | instskip(SKIP_2) | instid1(VALU_DEP_1)
	v_rcp_f32_e32 v12, v11
	s_waitcnt_depctr 0xfff
	v_fma_f32 v13, -v11, v12, 1.0
	v_fmac_f32_e32 v12, v13, v12
	s_delay_alu instid0(VALU_DEP_1) | instskip(NEXT) | instid1(VALU_DEP_1)
	v_mul_f32_e32 v13, v14, v12
	v_fma_f32 v15, -v11, v13, v14
	s_delay_alu instid0(VALU_DEP_1) | instskip(NEXT) | instid1(VALU_DEP_1)
	v_fmac_f32_e32 v13, v15, v12
	v_fma_f32 v11, -v11, v13, v14
	s_delay_alu instid0(VALU_DEP_1) | instskip(NEXT) | instid1(VALU_DEP_1)
	v_div_fmas_f32 v11, v11, v12, v13
	v_div_fixup_f32 v10, v11, v10, 1.0
	s_delay_alu instid0(VALU_DEP_1)
	v_mul_f32_e32 v5, v10, v7
	v_mul_f32_e32 v7, v10, v9
	;; [unrolled: 1-line block ×4, first 2 shown]
	ds_store_b128 v0, v[4:7]
	s_cbranch_scc1 .LBB31_14
; %bb.4:
	s_load_b128 s[8:11], s[2:3], 0x20
	v_mul_lo_u32 v4, v1, s4
	v_dual_mov_b32 v6, 0xc61c4000 :: v_dual_lshlrev_b32 v5, 2, v2
	v_cmp_eq_u32_e32 vcc_lo, 0, v2
	s_branch .LBB31_6
.LBB31_5:                               ;   in Loop: Header=BB31_6 Depth=1
	s_or_b32 exec_lo, exec_lo, s0
	v_add_nc_u32_e32 v1, s14, v1
	s_cmp_lg_u32 s4, s7
	s_cbranch_scc0 .LBB31_14
.LBB31_6:                               ; =>This Inner Loop Header: Depth=1
	ds_load_b128 v[7:10], v0
	s_mov_b32 s3, exec_lo
	s_waitcnt lgkmcnt(0)
	v_cmp_gt_f32_e64 s0, v8, v7
	s_delay_alu instid0(VALU_DEP_1) | instskip(SKIP_1) | instid1(VALU_DEP_2)
	v_cndmask_b32_e64 v7, v7, v8, s0
	v_cndmask_b32_e64 v8, 0, 1, s0
	v_cmp_gt_f32_e64 s0, v9, v7
	s_delay_alu instid0(VALU_DEP_1) | instskip(NEXT) | instid1(VALU_DEP_3)
	v_cndmask_b32_e64 v7, v7, v9, s0
	v_cndmask_b32_e64 v9, v8, 2, s0
	s_delay_alu instid0(VALU_DEP_2) | instskip(NEXT) | instid1(VALU_DEP_1)
	v_cmp_gt_f32_e64 s0, v10, v7
	v_cndmask_b32_e64 v8, v7, v10, s0
	s_delay_alu instid0(VALU_DEP_3)
	v_cndmask_b32_e64 v7, v9, 3, s0
	ds_bpermute_b32 v9, v3, v8
	v_or_b32_e32 v7, v5, v7
	ds_bpermute_b32 v10, v3, v7
	s_waitcnt lgkmcnt(1)
	v_cmp_lt_f32_e64 s2, v8, v9
	v_cmpx_nlt_f32_e32 v8, v9
	s_cbranch_execnz .LBB31_12
; %bb.7:                                ;   in Loop: Header=BB31_6 Depth=1
	s_or_b32 exec_lo, exec_lo, s3
	s_delay_alu instid0(VALU_DEP_2)
	s_and_saveexec_b32 s0, s2
	s_cbranch_execnz .LBB31_13
.LBB31_8:                               ;   in Loop: Header=BB31_6 Depth=1
	s_or_b32 exec_lo, exec_lo, s0
	s_and_saveexec_b32 s2, vcc_lo
	s_cbranch_execz .LBB31_10
.LBB31_9:                               ;   in Loop: Header=BB31_6 Depth=1
	v_add_nc_u32_e32 v9, s7, v4
	v_cmp_le_i32_e64 s0, s5, v7
	v_cmp_gt_i32_e64 s1, s6, v7
	v_subrev_nc_u32_e32 v11, s5, v7
	s_waitcnt lgkmcnt(0)
	v_ashrrev_i32_e32 v10, 31, v9
	s_delay_alu instid0(VALU_DEP_3) | instskip(NEXT) | instid1(SALU_CYCLE_1)
	s_and_b32 s0, s0, s1
	s_and_b32 s0, s15, s0
	s_delay_alu instid0(VALU_DEP_1) | instskip(SKIP_1) | instid1(VALU_DEP_2)
	v_lshlrev_b64 v[9:10], 2, v[9:10]
	v_cndmask_b32_e64 v15, 8, v11, s0
	v_add_co_u32 v11, s0, s12, v9
	s_delay_alu instid0(VALU_DEP_1) | instskip(SKIP_1) | instid1(VALU_DEP_1)
	v_add_co_ci_u32_e64 v12, s0, s13, v10, s0
	v_add_co_u32 v13, s0, s8, v9
	v_add_co_ci_u32_e64 v14, s0, s9, v10, s0
	v_add_co_u32 v9, s0, s10, v9
	s_delay_alu instid0(VALU_DEP_1)
	v_add_co_ci_u32_e64 v10, s0, s11, v10, s0
	global_store_b32 v[11:12], v8, off
	global_store_b32 v[13:14], v15, off
	;; [unrolled: 1-line block ×3, first 2 shown]
.LBB31_10:                              ;   in Loop: Header=BB31_6 Depth=1
	s_or_b32 exec_lo, exec_lo, s2
	v_ashrrev_i32_e32 v8, 31, v7
	s_add_i32 s7, s7, 1
	s_delay_alu instid0(SALU_CYCLE_1) | instskip(SKIP_1) | instid1(VALU_DEP_1)
	s_cmp_lt_i32 s7, s4
	s_cselect_b32 s1, -1, 0
	v_lshrrev_b32_e32 v9, 30, v8
	s_waitcnt lgkmcnt(0)
	s_delay_alu instid0(VALU_DEP_1) | instskip(NEXT) | instid1(VALU_DEP_1)
	v_add_nc_u32_e32 v10, v7, v9
	v_ashrrev_i32_e32 v9, 2, v10
	v_lshrrev_b32_e32 v10, 31, v10
	s_delay_alu instid0(VALU_DEP_1) | instskip(NEXT) | instid1(VALU_DEP_1)
	v_add_nc_u32_e32 v10, v9, v10
	v_and_b32_e32 v10, -2, v10
	s_delay_alu instid0(VALU_DEP_1) | instskip(NEXT) | instid1(VALU_DEP_1)
	v_sub_nc_u32_e32 v10, v9, v10
	v_cmp_eq_u32_e64 s0, v2, v10
	s_delay_alu instid0(VALU_DEP_1) | instskip(NEXT) | instid1(SALU_CYCLE_1)
	s_and_b32 s1, s1, s0
	s_and_saveexec_b32 s0, s1
	s_cbranch_execz .LBB31_5
; %bb.11:                               ;   in Loop: Header=BB31_6 Depth=1
	v_lshrrev_b32_e32 v8, 29, v8
	v_lshlrev_b32_e32 v9, 2, v9
	s_delay_alu instid0(VALU_DEP_2) | instskip(NEXT) | instid1(VALU_DEP_2)
	v_add_nc_u32_e32 v8, v7, v8
	v_sub_nc_u32_e32 v7, v7, v9
	s_delay_alu instid0(VALU_DEP_2) | instskip(NEXT) | instid1(VALU_DEP_1)
	v_lshrrev_b32_e32 v8, 1, v8
	v_and_b32_e32 v8, 0x7ffffffc, v8
	s_delay_alu instid0(VALU_DEP_1) | instskip(NEXT) | instid1(VALU_DEP_1)
	v_add_nc_u32_e32 v7, v8, v7
	v_lshl_add_u32 v7, v7, 2, v0
	ds_store_b32 v7, v6
	s_branch .LBB31_5
.LBB31_12:                              ;   in Loop: Header=BB31_6 Depth=1
	v_cmp_eq_f32_e64 s0, v8, v9
	s_waitcnt lgkmcnt(0)
	v_cmp_lt_i32_e64 s1, v10, v7
	s_delay_alu instid0(VALU_DEP_1) | instskip(SKIP_2) | instid1(SALU_CYCLE_1)
	s_and_b32 s0, s0, s1
	s_and_not1_b32 s1, s2, exec_lo
	s_and_b32 s0, s0, exec_lo
	s_or_b32 s2, s1, s0
	s_or_b32 exec_lo, exec_lo, s3
	s_and_saveexec_b32 s0, s2
	s_cbranch_execz .LBB31_8
.LBB31_13:                              ;   in Loop: Header=BB31_6 Depth=1
	s_waitcnt lgkmcnt(0)
	v_dual_mov_b32 v8, v9 :: v_dual_mov_b32 v7, v10
	s_or_b32 exec_lo, exec_lo, s0
	s_and_saveexec_b32 s2, vcc_lo
	s_cbranch_execnz .LBB31_9
	s_branch .LBB31_10
.LBB31_14:
	s_nop 0
	s_sendmsg sendmsg(MSG_DEALLOC_VGPRS)
	s_endpgm
	.section	.rodata,"a",@progbits
	.p2align	6, 0x0
	.amdhsa_kernel _ZN4vllm3moe17topkGatingSoftmaxILi4ELi8ELi4ELi16ELi32EjEEvPKfPKbPfiPT4_Piiii
		.amdhsa_group_segment_fixed_size 2048
		.amdhsa_private_segment_fixed_size 0
		.amdhsa_kernarg_size 60
		.amdhsa_user_sgpr_count 15
		.amdhsa_user_sgpr_dispatch_ptr 1
		.amdhsa_user_sgpr_queue_ptr 0
		.amdhsa_user_sgpr_kernarg_segment_ptr 1
		.amdhsa_user_sgpr_dispatch_id 0
		.amdhsa_user_sgpr_private_segment_size 0
		.amdhsa_wavefront_size32 1
		.amdhsa_uses_dynamic_stack 0
		.amdhsa_enable_private_segment 0
		.amdhsa_system_sgpr_workgroup_id_x 1
		.amdhsa_system_sgpr_workgroup_id_y 0
		.amdhsa_system_sgpr_workgroup_id_z 0
		.amdhsa_system_sgpr_workgroup_info 0
		.amdhsa_system_vgpr_workitem_id 2
		.amdhsa_next_free_vgpr 22
		.amdhsa_next_free_sgpr 16
		.amdhsa_reserve_vcc 1
		.amdhsa_float_round_mode_32 0
		.amdhsa_float_round_mode_16_64 0
		.amdhsa_float_denorm_mode_32 3
		.amdhsa_float_denorm_mode_16_64 3
		.amdhsa_dx10_clamp 1
		.amdhsa_ieee_mode 1
		.amdhsa_fp16_overflow 0
		.amdhsa_workgroup_processor_mode 1
		.amdhsa_memory_ordered 1
		.amdhsa_forward_progress 0
		.amdhsa_shared_vgpr_count 0
		.amdhsa_exception_fp_ieee_invalid_op 0
		.amdhsa_exception_fp_denorm_src 0
		.amdhsa_exception_fp_ieee_div_zero 0
		.amdhsa_exception_fp_ieee_overflow 0
		.amdhsa_exception_fp_ieee_underflow 0
		.amdhsa_exception_fp_ieee_inexact 0
		.amdhsa_exception_int_div_zero 0
	.end_amdhsa_kernel
	.section	.text._ZN4vllm3moe17topkGatingSoftmaxILi4ELi8ELi4ELi16ELi32EjEEvPKfPKbPfiPT4_Piiii,"axG",@progbits,_ZN4vllm3moe17topkGatingSoftmaxILi4ELi8ELi4ELi16ELi32EjEEvPKfPKbPfiPT4_Piiii,comdat
.Lfunc_end31:
	.size	_ZN4vllm3moe17topkGatingSoftmaxILi4ELi8ELi4ELi16ELi32EjEEvPKfPKbPfiPT4_Piiii, .Lfunc_end31-_ZN4vllm3moe17topkGatingSoftmaxILi4ELi8ELi4ELi16ELi32EjEEvPKfPKbPfiPT4_Piiii
                                        ; -- End function
	.section	.AMDGPU.csdata,"",@progbits
; Kernel info:
; codeLenInByte = 1564
; NumSgprs: 18
; NumVgprs: 22
; ScratchSize: 0
; MemoryBound: 0
; FloatMode: 240
; IeeeMode: 1
; LDSByteSize: 2048 bytes/workgroup (compile time only)
; SGPRBlocks: 2
; VGPRBlocks: 2
; NumSGPRsForWavesPerEU: 18
; NumVGPRsForWavesPerEU: 22
; Occupancy: 16
; WaveLimiterHint : 0
; COMPUTE_PGM_RSRC2:SCRATCH_EN: 0
; COMPUTE_PGM_RSRC2:USER_SGPR: 15
; COMPUTE_PGM_RSRC2:TRAP_HANDLER: 0
; COMPUTE_PGM_RSRC2:TGID_X_EN: 1
; COMPUTE_PGM_RSRC2:TGID_Y_EN: 0
; COMPUTE_PGM_RSRC2:TGID_Z_EN: 0
; COMPUTE_PGM_RSRC2:TIDIG_COMP_CNT: 2
	.section	.text._ZN4vllm3moe17topkGatingSoftmaxILi4ELi16ELi4ELi16ELi64EjEEvPKfPKbPfiPT4_Piiii,"axG",@progbits,_ZN4vllm3moe17topkGatingSoftmaxILi4ELi16ELi4ELi16ELi64EjEEvPKfPKbPfiPT4_Piiii,comdat
	.protected	_ZN4vllm3moe17topkGatingSoftmaxILi4ELi16ELi4ELi16ELi64EjEEvPKfPKbPfiPT4_Piiii ; -- Begin function _ZN4vllm3moe17topkGatingSoftmaxILi4ELi16ELi4ELi16ELi64EjEEvPKfPKbPfiPT4_Piiii
	.globl	_ZN4vllm3moe17topkGatingSoftmaxILi4ELi16ELi4ELi16ELi64EjEEvPKfPKbPfiPT4_Piiii
	.p2align	8
	.type	_ZN4vllm3moe17topkGatingSoftmaxILi4ELi16ELi4ELi16ELi64EjEEvPKfPKbPfiPT4_Piiii,@function
_ZN4vllm3moe17topkGatingSoftmaxILi4ELi16ELi4ELi16ELi64EjEEvPKfPKbPfiPT4_Piiii: ; @_ZN4vllm3moe17topkGatingSoftmaxILi4ELi16ELi4ELi16ELi64EjEEvPKfPKbPfiPT4_Piiii
; %bb.0:
	s_load_b32 s14, s[2:3], 0x18
	v_bfe_u32 v5, v0, 10, 10
	v_and_b32_e32 v6, 0x3ff, v0
	s_lshl_b32 s4, s15, 6
	s_delay_alu instid0(VALU_DEP_2) | instskip(NEXT) | instid1(VALU_DEP_2)
	v_lshlrev_b32_e32 v1, 4, v5
	v_lshrrev_b32_e32 v2, 2, v6
	s_delay_alu instid0(VALU_DEP_1) | instskip(SKIP_2) | instid1(VALU_DEP_1)
	v_add3_u32 v1, s4, v1, v2
	s_mov_b32 s4, exec_lo
	s_waitcnt lgkmcnt(0)
	v_cmpx_gt_i32_e64 s14, v1
	s_cbranch_execz .LBB32_18
; %bb.1:
	s_clause 0x1
	s_load_b128 s[4:7], s[2:3], 0x0
	s_load_b64 s[12:13], s[2:3], 0x10
	s_mov_b32 s15, -1
	s_waitcnt lgkmcnt(0)
	s_cmp_eq_u64 s[6:7], 0
	s_cbranch_scc1 .LBB32_3
; %bb.2:
	v_ashrrev_i32_e32 v3, 31, v1
	v_add_co_u32 v2, vcc_lo, s6, v1
	s_delay_alu instid0(VALU_DEP_2) | instskip(SKIP_3) | instid1(VALU_DEP_1)
	v_add_co_ci_u32_e32 v3, vcc_lo, s7, v3, vcc_lo
	global_load_u8 v2, v[2:3], off
	s_waitcnt vmcnt(0)
	v_and_b32_e32 v2, 1, v2
	v_cmp_eq_u32_e32 vcc_lo, 1, v2
	s_xor_b32 s6, vcc_lo, -1
	s_delay_alu instid0(SALU_CYCLE_1)
	s_or_not1_b32 s15, s6, exec_lo
.LBB32_3:
	v_lshlrev_b32_e32 v3, 4, v1
	v_and_b32_e32 v2, 3, v6
	s_load_b64 s[0:1], s[0:1], 0x4
	v_bfe_u32 v0, v0, 20, 10
	s_delay_alu instid0(VALU_DEP_3) | instskip(NEXT) | instid1(VALU_DEP_3)
	v_ashrrev_i32_e32 v4, 31, v3
	v_lshlrev_b32_e32 v7, 4, v2
	s_delay_alu instid0(VALU_DEP_2) | instskip(NEXT) | instid1(VALU_DEP_1)
	v_lshlrev_b64 v[3:4], 2, v[3:4]
	v_add_co_u32 v3, vcc_lo, s4, v3
	s_delay_alu instid0(VALU_DEP_2) | instskip(SKIP_1) | instid1(VALU_DEP_2)
	v_add_co_ci_u32_e32 v4, vcc_lo, s5, v4, vcc_lo
	s_load_b128 s[4:7], s[2:3], 0x30
	v_add_co_u32 v3, vcc_lo, v3, v7
	s_delay_alu instid0(VALU_DEP_2)
	v_add_co_ci_u32_e32 v4, vcc_lo, 0, v4, vcc_lo
	s_waitcnt lgkmcnt(0)
	s_lshr_b32 s0, s0, 16
	s_mov_b32 s7, 0
	s_mul_i32 s0, s0, s1
	global_load_b128 v[7:10], v[3:4], off
	v_mbcnt_lo_u32_b32 v4, -1, 0
	v_mul_lo_u32 v6, s0, v6
	s_delay_alu instid0(VALU_DEP_2) | instskip(SKIP_2) | instid1(VALU_DEP_4)
	v_and_b32_e32 v3, 28, v4
	v_xor_b32_e32 v11, 2, v4
	v_xor_b32_e32 v14, 1, v4
	v_mad_u32_u24 v5, v5, s1, v6
	s_delay_alu instid0(VALU_DEP_4) | instskip(SKIP_1) | instid1(VALU_DEP_2)
	v_add_nc_u32_e32 v12, 4, v3
	s_cmp_lt_i32 s4, 1
	v_add_lshl_u32 v0, v5, v0, 4
	s_delay_alu instid0(VALU_DEP_2) | instskip(SKIP_3) | instid1(VALU_DEP_1)
	v_cmp_lt_i32_e32 vcc_lo, v11, v12
	v_cndmask_b32_e32 v11, v4, v11, vcc_lo
	v_cmp_lt_i32_e32 vcc_lo, v14, v12
	v_cndmask_b32_e32 v4, v4, v14, vcc_lo
	v_lshlrev_b32_e32 v4, 2, v4
	s_waitcnt vmcnt(0)
	v_max_f32_e32 v3, v8, v8
	v_max_f32_e32 v13, v7, v7
	s_delay_alu instid0(VALU_DEP_1) | instskip(SKIP_1) | instid1(VALU_DEP_2)
	v_max_f32_e32 v13, v13, v3
	v_lshlrev_b32_e32 v3, 2, v11
	v_max3_f32 v11, v13, v9, v10
	ds_bpermute_b32 v13, v3, v11
	s_waitcnt lgkmcnt(0)
	v_max_f32_e32 v12, v13, v13
	s_delay_alu instid0(VALU_DEP_1) | instskip(SKIP_3) | instid1(VALU_DEP_1)
	v_max_f32_e32 v11, v11, v12
	ds_bpermute_b32 v12, v4, v11
	s_waitcnt lgkmcnt(0)
	v_max_f32_e32 v12, v12, v12
	v_max_f32_e32 v11, v11, v12
	s_delay_alu instid0(VALU_DEP_1) | instskip(NEXT) | instid1(VALU_DEP_1)
	v_sub_f32_e32 v10, v10, v11
	v_mul_f32_e32 v14, 0x3fb8aa3b, v10
	s_delay_alu instid0(VALU_DEP_1) | instskip(SKIP_1) | instid1(VALU_DEP_2)
	v_rndne_f32_e32 v22, v14
	v_fma_f32 v21, 0x3fb8aa3b, v10, -v14
	v_sub_f32_e32 v14, v14, v22
	s_delay_alu instid0(VALU_DEP_2) | instskip(NEXT) | instid1(VALU_DEP_1)
	v_dual_sub_f32 v8, v8, v11 :: v_dual_fmac_f32 v21, 0x32a5705f, v10
	v_dual_sub_f32 v9, v9, v11 :: v_dual_mul_f32 v12, 0x3fb8aa3b, v8
	s_delay_alu instid0(VALU_DEP_2) | instskip(NEXT) | instid1(VALU_DEP_2)
	v_add_f32_e32 v14, v14, v21
	v_mul_f32_e32 v13, 0x3fb8aa3b, v9
	s_delay_alu instid0(VALU_DEP_3) | instskip(SKIP_1) | instid1(VALU_DEP_3)
	v_fma_f32 v17, 0x3fb8aa3b, v8, -v12
	v_rndne_f32_e32 v18, v12
	v_fma_f32 v19, 0x3fb8aa3b, v9, -v13
	v_rndne_f32_e32 v20, v13
	v_exp_f32_e32 v14, v14
	s_delay_alu instid0(VALU_DEP_3) | instskip(SKIP_2) | instid1(VALU_DEP_3)
	v_dual_fmac_f32 v17, 0x32a5705f, v8 :: v_dual_sub_f32 v12, v12, v18
	v_sub_f32_e32 v7, v7, v11
	v_fmac_f32_e32 v19, 0x32a5705f, v9
	v_dual_sub_f32 v13, v13, v20 :: v_dual_add_f32 v12, v12, v17
	s_delay_alu instid0(VALU_DEP_3) | instskip(SKIP_1) | instid1(VALU_DEP_3)
	v_mul_f32_e32 v11, 0x3fb8aa3b, v7
	v_cmp_ngt_f32_e32 vcc_lo, 0xc2ce8ed0, v7
	v_add_f32_e32 v13, v13, v19
	v_cvt_i32_f32_e32 v17, v20
	v_exp_f32_e32 v12, v12
	v_fma_f32 v15, 0x3fb8aa3b, v7, -v11
	v_rndne_f32_e32 v16, v11
	v_exp_f32_e32 v13, v13
	s_delay_alu instid0(VALU_DEP_2) | instskip(NEXT) | instid1(VALU_DEP_2)
	v_fmac_f32_e32 v15, 0x32a5705f, v7
	v_sub_f32_e32 v11, v11, v16
	s_delay_alu instid0(VALU_DEP_1)
	v_add_f32_e32 v11, v11, v15
	v_cvt_i32_f32_e32 v15, v16
	v_cvt_i32_f32_e32 v16, v18
	s_waitcnt_depctr 0xfff
	v_ldexp_f32 v13, v13, v17
	v_cvt_i32_f32_e32 v18, v22
	v_exp_f32_e32 v11, v11
	v_ldexp_f32 v12, v12, v16
	s_delay_alu instid0(VALU_DEP_2) | instskip(SKIP_2) | instid1(VALU_DEP_1)
	v_ldexp_f32 v14, v14, v18
	s_waitcnt_depctr 0xfff
	v_ldexp_f32 v11, v11, v15
	v_cndmask_b32_e32 v11, 0, v11, vcc_lo
	v_cmp_ngt_f32_e32 vcc_lo, 0xc2ce8ed0, v8
	v_cndmask_b32_e32 v12, 0, v12, vcc_lo
	v_cmp_ngt_f32_e32 vcc_lo, 0xc2ce8ed0, v9
	v_cndmask_b32_e32 v13, 0, v13, vcc_lo
	v_cmp_nlt_f32_e32 vcc_lo, 0x42b17218, v7
	v_cndmask_b32_e32 v7, 0x7f800000, v11, vcc_lo
	v_cmp_nlt_f32_e32 vcc_lo, 0x42b17218, v8
	v_cndmask_b32_e32 v8, 0x7f800000, v12, vcc_lo
	v_cmp_ngt_f32_e32 vcc_lo, 0xc2ce8ed0, v10
	s_delay_alu instid0(VALU_DEP_2) | instskip(SKIP_3) | instid1(VALU_DEP_2)
	v_dual_add_f32 v12, v7, v8 :: v_dual_cndmask_b32 v11, 0, v14
	v_cmp_nlt_f32_e32 vcc_lo, 0x42b17218, v9
	v_cndmask_b32_e32 v9, 0x7f800000, v13, vcc_lo
	v_cmp_nlt_f32_e32 vcc_lo, 0x42b17218, v10
	v_dual_cndmask_b32 v10, 0x7f800000, v11 :: v_dual_add_f32 v11, v12, v9
	s_delay_alu instid0(VALU_DEP_1)
	v_add_f32_e32 v11, v11, v10
	ds_bpermute_b32 v12, v3, v11
	s_waitcnt lgkmcnt(0)
	v_add_f32_e32 v11, v11, v12
	ds_bpermute_b32 v12, v4, v11
	s_waitcnt lgkmcnt(0)
	v_add_f32_e32 v11, v11, v12
	s_delay_alu instid0(VALU_DEP_1) | instskip(SKIP_1) | instid1(VALU_DEP_2)
	v_div_scale_f32 v12, null, v11, v11, 1.0
	v_div_scale_f32 v15, vcc_lo, 1.0, v11, 1.0
	v_rcp_f32_e32 v13, v12
	s_waitcnt_depctr 0xfff
	v_fma_f32 v14, -v12, v13, 1.0
	s_delay_alu instid0(VALU_DEP_1) | instskip(NEXT) | instid1(VALU_DEP_1)
	v_fmac_f32_e32 v13, v14, v13
	v_mul_f32_e32 v14, v15, v13
	s_delay_alu instid0(VALU_DEP_1) | instskip(NEXT) | instid1(VALU_DEP_1)
	v_fma_f32 v16, -v12, v14, v15
	v_fmac_f32_e32 v14, v16, v13
	s_delay_alu instid0(VALU_DEP_1) | instskip(NEXT) | instid1(VALU_DEP_1)
	v_fma_f32 v12, -v12, v14, v15
	v_div_fmas_f32 v12, v12, v13, v14
	s_delay_alu instid0(VALU_DEP_1) | instskip(NEXT) | instid1(VALU_DEP_1)
	v_div_fixup_f32 v11, v12, v11, 1.0
	v_mul_f32_e32 v5, v11, v7
	v_mul_f32_e32 v6, v11, v8
	;; [unrolled: 1-line block ×4, first 2 shown]
	ds_store_b128 v0, v[5:8]
	s_cbranch_scc1 .LBB32_18
; %bb.4:
	s_load_b128 s[8:11], s[2:3], 0x20
	v_mul_lo_u32 v5, v1, s4
	v_dual_mov_b32 v7, 0xc61c4000 :: v_dual_lshlrev_b32 v6, 2, v2
	v_cmp_eq_u32_e32 vcc_lo, 0, v2
	s_branch .LBB32_6
.LBB32_5:                               ;   in Loop: Header=BB32_6 Depth=1
	s_or_b32 exec_lo, exec_lo, s0
	v_add_nc_u32_e32 v1, s14, v1
	s_cmp_lg_u32 s4, s7
	s_cbranch_scc0 .LBB32_18
.LBB32_6:                               ; =>This Inner Loop Header: Depth=1
	ds_load_b128 v[8:11], v0
	s_mov_b32 s3, exec_lo
	s_waitcnt lgkmcnt(0)
	v_cmp_gt_f32_e64 s0, v9, v8
	s_delay_alu instid0(VALU_DEP_1) | instskip(SKIP_1) | instid1(VALU_DEP_2)
	v_cndmask_b32_e64 v8, v8, v9, s0
	v_cndmask_b32_e64 v9, 0, 1, s0
	v_cmp_gt_f32_e64 s0, v10, v8
	s_delay_alu instid0(VALU_DEP_1) | instskip(NEXT) | instid1(VALU_DEP_3)
	v_cndmask_b32_e64 v8, v8, v10, s0
	v_cndmask_b32_e64 v10, v9, 2, s0
	s_delay_alu instid0(VALU_DEP_2) | instskip(NEXT) | instid1(VALU_DEP_1)
	v_cmp_gt_f32_e64 s0, v11, v8
	v_cndmask_b32_e64 v9, v8, v11, s0
	s_delay_alu instid0(VALU_DEP_3)
	v_cndmask_b32_e64 v8, v10, 3, s0
	ds_bpermute_b32 v10, v3, v9
	v_or_b32_e32 v8, v6, v8
	ds_bpermute_b32 v11, v3, v8
	s_waitcnt lgkmcnt(1)
	v_cmp_lt_f32_e64 s2, v9, v10
	v_cmpx_nlt_f32_e32 v9, v10
	s_cbranch_execz .LBB32_8
; %bb.7:                                ;   in Loop: Header=BB32_6 Depth=1
	v_cmp_eq_f32_e64 s0, v9, v10
	s_waitcnt lgkmcnt(0)
	v_cmp_lt_i32_e64 s1, v11, v8
	s_delay_alu instid0(VALU_DEP_1) | instskip(SKIP_2) | instid1(SALU_CYCLE_1)
	s_and_b32 s0, s0, s1
	s_and_not1_b32 s1, s2, exec_lo
	s_and_b32 s0, s0, exec_lo
	s_or_b32 s2, s1, s0
.LBB32_8:                               ;   in Loop: Header=BB32_6 Depth=1
	s_or_b32 exec_lo, exec_lo, s3
	s_delay_alu instid0(VALU_DEP_2)
	s_and_saveexec_b32 s0, s2
	s_cbranch_execz .LBB32_10
; %bb.9:                                ;   in Loop: Header=BB32_6 Depth=1
	s_waitcnt lgkmcnt(0)
	v_dual_mov_b32 v9, v10 :: v_dual_mov_b32 v8, v11
.LBB32_10:                              ;   in Loop: Header=BB32_6 Depth=1
	s_or_b32 exec_lo, exec_lo, s0
	ds_bpermute_b32 v10, v4, v9
	s_waitcnt lgkmcnt(1)
	ds_bpermute_b32 v11, v4, v8
	s_mov_b32 s3, exec_lo
	s_waitcnt lgkmcnt(1)
	v_cmp_lt_f32_e64 s2, v9, v10
	v_cmpx_nlt_f32_e32 v9, v10
	s_cbranch_execnz .LBB32_16
; %bb.11:                               ;   in Loop: Header=BB32_6 Depth=1
	s_or_b32 exec_lo, exec_lo, s3
	s_delay_alu instid0(VALU_DEP_2)
	s_and_saveexec_b32 s0, s2
	s_cbranch_execnz .LBB32_17
.LBB32_12:                              ;   in Loop: Header=BB32_6 Depth=1
	s_or_b32 exec_lo, exec_lo, s0
	s_and_saveexec_b32 s2, vcc_lo
	s_cbranch_execz .LBB32_14
.LBB32_13:                              ;   in Loop: Header=BB32_6 Depth=1
	v_add_nc_u32_e32 v10, s7, v5
	v_cmp_le_i32_e64 s0, s5, v8
	v_cmp_gt_i32_e64 s1, s6, v8
	v_subrev_nc_u32_e32 v12, s5, v8
	s_waitcnt lgkmcnt(0)
	v_ashrrev_i32_e32 v11, 31, v10
	s_delay_alu instid0(VALU_DEP_3) | instskip(NEXT) | instid1(SALU_CYCLE_1)
	s_and_b32 s0, s0, s1
	s_and_b32 s0, s15, s0
	s_delay_alu instid0(VALU_DEP_1) | instskip(SKIP_1) | instid1(VALU_DEP_2)
	v_lshlrev_b64 v[10:11], 2, v[10:11]
	v_cndmask_b32_e64 v16, 16, v12, s0
	v_add_co_u32 v12, s0, s12, v10
	s_delay_alu instid0(VALU_DEP_1) | instskip(SKIP_1) | instid1(VALU_DEP_1)
	v_add_co_ci_u32_e64 v13, s0, s13, v11, s0
	v_add_co_u32 v14, s0, s8, v10
	v_add_co_ci_u32_e64 v15, s0, s9, v11, s0
	v_add_co_u32 v10, s0, s10, v10
	s_delay_alu instid0(VALU_DEP_1)
	v_add_co_ci_u32_e64 v11, s0, s11, v11, s0
	global_store_b32 v[12:13], v9, off
	global_store_b32 v[14:15], v16, off
	;; [unrolled: 1-line block ×3, first 2 shown]
.LBB32_14:                              ;   in Loop: Header=BB32_6 Depth=1
	s_or_b32 exec_lo, exec_lo, s2
	v_ashrrev_i32_e32 v9, 31, v8
	s_add_i32 s7, s7, 1
	s_delay_alu instid0(SALU_CYCLE_1) | instskip(SKIP_1) | instid1(VALU_DEP_1)
	s_cmp_lt_i32 s7, s4
	s_cselect_b32 s1, -1, 0
	v_lshrrev_b32_e32 v10, 30, v9
	s_delay_alu instid0(VALU_DEP_1) | instskip(NEXT) | instid1(VALU_DEP_1)
	v_add_nc_u32_e32 v10, v8, v10
	v_ashrrev_i32_e32 v10, 2, v10
	s_waitcnt lgkmcnt(0)
	s_delay_alu instid0(VALU_DEP_1) | instskip(NEXT) | instid1(VALU_DEP_1)
	v_lshrrev_b32_e32 v11, 30, v10
	v_add_nc_u32_e32 v11, v10, v11
	s_delay_alu instid0(VALU_DEP_1) | instskip(NEXT) | instid1(VALU_DEP_1)
	v_and_b32_e32 v11, -4, v11
	v_sub_nc_u32_e32 v11, v10, v11
	s_delay_alu instid0(VALU_DEP_1) | instskip(NEXT) | instid1(VALU_DEP_1)
	v_cmp_eq_u32_e64 s0, v2, v11
	s_and_b32 s1, s1, s0
	s_delay_alu instid0(SALU_CYCLE_1)
	s_and_saveexec_b32 s0, s1
	s_cbranch_execz .LBB32_5
; %bb.15:                               ;   in Loop: Header=BB32_6 Depth=1
	v_lshrrev_b32_e32 v9, 28, v9
	v_lshlrev_b32_e32 v10, 2, v10
	s_delay_alu instid0(VALU_DEP_2) | instskip(NEXT) | instid1(VALU_DEP_2)
	v_add_nc_u32_e32 v9, v8, v9
	v_sub_nc_u32_e32 v8, v8, v10
	s_delay_alu instid0(VALU_DEP_2) | instskip(NEXT) | instid1(VALU_DEP_1)
	v_lshrrev_b32_e32 v9, 2, v9
	v_and_b32_e32 v9, 0x3ffffffc, v9
	s_delay_alu instid0(VALU_DEP_1) | instskip(NEXT) | instid1(VALU_DEP_1)
	v_add_nc_u32_e32 v8, v9, v8
	v_lshl_add_u32 v8, v8, 2, v0
	ds_store_b32 v8, v7
	s_branch .LBB32_5
.LBB32_16:                              ;   in Loop: Header=BB32_6 Depth=1
	v_cmp_eq_f32_e64 s0, v9, v10
	s_waitcnt lgkmcnt(0)
	v_cmp_lt_i32_e64 s1, v11, v8
	s_delay_alu instid0(VALU_DEP_1) | instskip(SKIP_2) | instid1(SALU_CYCLE_1)
	s_and_b32 s0, s0, s1
	s_and_not1_b32 s1, s2, exec_lo
	s_and_b32 s0, s0, exec_lo
	s_or_b32 s2, s1, s0
	s_or_b32 exec_lo, exec_lo, s3
	s_and_saveexec_b32 s0, s2
	s_cbranch_execz .LBB32_12
.LBB32_17:                              ;   in Loop: Header=BB32_6 Depth=1
	s_waitcnt lgkmcnt(0)
	v_dual_mov_b32 v9, v10 :: v_dual_mov_b32 v8, v11
	s_or_b32 exec_lo, exec_lo, s0
	s_and_saveexec_b32 s2, vcc_lo
	s_cbranch_execnz .LBB32_13
	s_branch .LBB32_14
.LBB32_18:
	s_nop 0
	s_sendmsg sendmsg(MSG_DEALLOC_VGPRS)
	s_endpgm
	.section	.rodata,"a",@progbits
	.p2align	6, 0x0
	.amdhsa_kernel _ZN4vllm3moe17topkGatingSoftmaxILi4ELi16ELi4ELi16ELi64EjEEvPKfPKbPfiPT4_Piiii
		.amdhsa_group_segment_fixed_size 4096
		.amdhsa_private_segment_fixed_size 0
		.amdhsa_kernarg_size 60
		.amdhsa_user_sgpr_count 15
		.amdhsa_user_sgpr_dispatch_ptr 1
		.amdhsa_user_sgpr_queue_ptr 0
		.amdhsa_user_sgpr_kernarg_segment_ptr 1
		.amdhsa_user_sgpr_dispatch_id 0
		.amdhsa_user_sgpr_private_segment_size 0
		.amdhsa_wavefront_size32 1
		.amdhsa_uses_dynamic_stack 0
		.amdhsa_enable_private_segment 0
		.amdhsa_system_sgpr_workgroup_id_x 1
		.amdhsa_system_sgpr_workgroup_id_y 0
		.amdhsa_system_sgpr_workgroup_id_z 0
		.amdhsa_system_sgpr_workgroup_info 0
		.amdhsa_system_vgpr_workitem_id 2
		.amdhsa_next_free_vgpr 23
		.amdhsa_next_free_sgpr 16
		.amdhsa_reserve_vcc 1
		.amdhsa_float_round_mode_32 0
		.amdhsa_float_round_mode_16_64 0
		.amdhsa_float_denorm_mode_32 3
		.amdhsa_float_denorm_mode_16_64 3
		.amdhsa_dx10_clamp 1
		.amdhsa_ieee_mode 1
		.amdhsa_fp16_overflow 0
		.amdhsa_workgroup_processor_mode 1
		.amdhsa_memory_ordered 1
		.amdhsa_forward_progress 0
		.amdhsa_shared_vgpr_count 0
		.amdhsa_exception_fp_ieee_invalid_op 0
		.amdhsa_exception_fp_denorm_src 0
		.amdhsa_exception_fp_ieee_div_zero 0
		.amdhsa_exception_fp_ieee_overflow 0
		.amdhsa_exception_fp_ieee_underflow 0
		.amdhsa_exception_fp_ieee_inexact 0
		.amdhsa_exception_int_div_zero 0
	.end_amdhsa_kernel
	.section	.text._ZN4vllm3moe17topkGatingSoftmaxILi4ELi16ELi4ELi16ELi64EjEEvPKfPKbPfiPT4_Piiii,"axG",@progbits,_ZN4vllm3moe17topkGatingSoftmaxILi4ELi16ELi4ELi16ELi64EjEEvPKfPKbPfiPT4_Piiii,comdat
.Lfunc_end32:
	.size	_ZN4vllm3moe17topkGatingSoftmaxILi4ELi16ELi4ELi16ELi64EjEEvPKfPKbPfiPT4_Piiii, .Lfunc_end32-_ZN4vllm3moe17topkGatingSoftmaxILi4ELi16ELi4ELi16ELi64EjEEvPKfPKbPfiPT4_Piiii
                                        ; -- End function
	.section	.AMDGPU.csdata,"",@progbits
; Kernel info:
; codeLenInByte = 1744
; NumSgprs: 18
; NumVgprs: 23
; ScratchSize: 0
; MemoryBound: 0
; FloatMode: 240
; IeeeMode: 1
; LDSByteSize: 4096 bytes/workgroup (compile time only)
; SGPRBlocks: 2
; VGPRBlocks: 2
; NumSGPRsForWavesPerEU: 18
; NumVGPRsForWavesPerEU: 23
; Occupancy: 16
; WaveLimiterHint : 0
; COMPUTE_PGM_RSRC2:SCRATCH_EN: 0
; COMPUTE_PGM_RSRC2:USER_SGPR: 15
; COMPUTE_PGM_RSRC2:TRAP_HANDLER: 0
; COMPUTE_PGM_RSRC2:TGID_X_EN: 1
; COMPUTE_PGM_RSRC2:TGID_Y_EN: 0
; COMPUTE_PGM_RSRC2:TGID_Z_EN: 0
; COMPUTE_PGM_RSRC2:TIDIG_COMP_CNT: 2
	.section	.text._ZN4vllm3moe17topkGatingSoftmaxILi4ELi16ELi4ELi16ELi32EjEEvPKfPKbPfiPT4_Piiii,"axG",@progbits,_ZN4vllm3moe17topkGatingSoftmaxILi4ELi16ELi4ELi16ELi32EjEEvPKfPKbPfiPT4_Piiii,comdat
	.protected	_ZN4vllm3moe17topkGatingSoftmaxILi4ELi16ELi4ELi16ELi32EjEEvPKfPKbPfiPT4_Piiii ; -- Begin function _ZN4vllm3moe17topkGatingSoftmaxILi4ELi16ELi4ELi16ELi32EjEEvPKfPKbPfiPT4_Piiii
	.globl	_ZN4vllm3moe17topkGatingSoftmaxILi4ELi16ELi4ELi16ELi32EjEEvPKfPKbPfiPT4_Piiii
	.p2align	8
	.type	_ZN4vllm3moe17topkGatingSoftmaxILi4ELi16ELi4ELi16ELi32EjEEvPKfPKbPfiPT4_Piiii,@function
_ZN4vllm3moe17topkGatingSoftmaxILi4ELi16ELi4ELi16ELi32EjEEvPKfPKbPfiPT4_Piiii: ; @_ZN4vllm3moe17topkGatingSoftmaxILi4ELi16ELi4ELi16ELi32EjEEvPKfPKbPfiPT4_Piiii
; %bb.0:
	s_load_b32 s14, s[2:3], 0x18
	v_bfe_u32 v6, v0, 10, 10
	v_and_b32_e32 v5, 0x3ff, v0
	s_lshl_b32 s4, s15, 5
	s_delay_alu instid0(VALU_DEP_2) | instskip(NEXT) | instid1(VALU_DEP_2)
	v_lshlrev_b32_e32 v1, 3, v6
	v_lshrrev_b32_e32 v2, 2, v5
	s_delay_alu instid0(VALU_DEP_1) | instskip(SKIP_2) | instid1(VALU_DEP_1)
	v_add3_u32 v1, s4, v1, v2
	s_mov_b32 s4, exec_lo
	s_waitcnt lgkmcnt(0)
	v_cmpx_gt_i32_e64 s14, v1
	s_cbranch_execz .LBB33_18
; %bb.1:
	s_clause 0x1
	s_load_b128 s[4:7], s[2:3], 0x0
	s_load_b64 s[12:13], s[2:3], 0x10
	s_mov_b32 s15, -1
	s_waitcnt lgkmcnt(0)
	s_cmp_eq_u64 s[6:7], 0
	s_cbranch_scc1 .LBB33_3
; %bb.2:
	v_ashrrev_i32_e32 v3, 31, v1
	v_add_co_u32 v2, vcc_lo, s6, v1
	s_delay_alu instid0(VALU_DEP_2) | instskip(SKIP_3) | instid1(VALU_DEP_1)
	v_add_co_ci_u32_e32 v3, vcc_lo, s7, v3, vcc_lo
	global_load_u8 v2, v[2:3], off
	s_waitcnt vmcnt(0)
	v_and_b32_e32 v2, 1, v2
	v_cmp_eq_u32_e32 vcc_lo, 1, v2
	s_xor_b32 s6, vcc_lo, -1
	s_delay_alu instid0(SALU_CYCLE_1)
	s_or_not1_b32 s15, s6, exec_lo
.LBB33_3:
	v_lshlrev_b32_e32 v3, 4, v1
	v_and_b32_e32 v2, 3, v5
	s_load_b64 s[0:1], s[0:1], 0x4
	v_bfe_u32 v0, v0, 20, 10
	s_delay_alu instid0(VALU_DEP_3) | instskip(NEXT) | instid1(VALU_DEP_3)
	v_ashrrev_i32_e32 v4, 31, v3
	v_lshlrev_b32_e32 v7, 4, v2
	s_delay_alu instid0(VALU_DEP_2) | instskip(NEXT) | instid1(VALU_DEP_1)
	v_lshlrev_b64 v[3:4], 2, v[3:4]
	v_add_co_u32 v3, vcc_lo, s4, v3
	s_delay_alu instid0(VALU_DEP_2) | instskip(SKIP_1) | instid1(VALU_DEP_2)
	v_add_co_ci_u32_e32 v4, vcc_lo, s5, v4, vcc_lo
	s_load_b128 s[4:7], s[2:3], 0x30
	v_add_co_u32 v3, vcc_lo, v3, v7
	s_delay_alu instid0(VALU_DEP_2)
	v_add_co_ci_u32_e32 v4, vcc_lo, 0, v4, vcc_lo
	s_waitcnt lgkmcnt(0)
	v_mul_u32_u24_e32 v6, s1, v6
	s_lshr_b32 s0, s0, 16
	s_mov_b32 s7, 0
	global_load_b128 v[7:10], v[3:4], off
	v_mbcnt_lo_u32_b32 v4, -1, 0
	s_mul_i32 s0, s0, s1
	s_delay_alu instid0(SALU_CYCLE_1) | instskip(NEXT) | instid1(VALU_DEP_2)
	v_mad_u32_u24 v5, s0, v5, v6
	v_and_b32_e32 v3, 28, v4
	v_xor_b32_e32 v11, 2, v4
	v_xor_b32_e32 v14, 1, v4
	s_delay_alu instid0(VALU_DEP_4) | instskip(NEXT) | instid1(VALU_DEP_4)
	v_add_lshl_u32 v0, v5, v0, 4
	v_add_nc_u32_e32 v12, 4, v3
	s_cmp_lt_i32 s4, 1
	s_delay_alu instid0(VALU_DEP_1) | instskip(SKIP_3) | instid1(VALU_DEP_1)
	v_cmp_lt_i32_e32 vcc_lo, v11, v12
	v_cndmask_b32_e32 v11, v4, v11, vcc_lo
	v_cmp_lt_i32_e32 vcc_lo, v14, v12
	v_cndmask_b32_e32 v4, v4, v14, vcc_lo
	v_lshlrev_b32_e32 v4, 2, v4
	s_waitcnt vmcnt(0)
	v_max_f32_e32 v3, v8, v8
	v_max_f32_e32 v13, v7, v7
	s_delay_alu instid0(VALU_DEP_1) | instskip(SKIP_1) | instid1(VALU_DEP_2)
	v_max_f32_e32 v13, v13, v3
	v_lshlrev_b32_e32 v3, 2, v11
	v_max3_f32 v11, v13, v9, v10
	ds_bpermute_b32 v13, v3, v11
	s_waitcnt lgkmcnt(0)
	v_max_f32_e32 v12, v13, v13
	s_delay_alu instid0(VALU_DEP_1) | instskip(SKIP_3) | instid1(VALU_DEP_1)
	v_max_f32_e32 v11, v11, v12
	ds_bpermute_b32 v12, v4, v11
	s_waitcnt lgkmcnt(0)
	v_max_f32_e32 v12, v12, v12
	v_max_f32_e32 v11, v11, v12
	s_delay_alu instid0(VALU_DEP_1) | instskip(NEXT) | instid1(VALU_DEP_1)
	v_sub_f32_e32 v10, v10, v11
	v_mul_f32_e32 v14, 0x3fb8aa3b, v10
	s_delay_alu instid0(VALU_DEP_1) | instskip(SKIP_1) | instid1(VALU_DEP_2)
	v_rndne_f32_e32 v22, v14
	v_fma_f32 v21, 0x3fb8aa3b, v10, -v14
	v_sub_f32_e32 v14, v14, v22
	s_delay_alu instid0(VALU_DEP_2) | instskip(NEXT) | instid1(VALU_DEP_1)
	v_dual_sub_f32 v8, v8, v11 :: v_dual_fmac_f32 v21, 0x32a5705f, v10
	v_dual_sub_f32 v9, v9, v11 :: v_dual_mul_f32 v12, 0x3fb8aa3b, v8
	s_delay_alu instid0(VALU_DEP_2) | instskip(NEXT) | instid1(VALU_DEP_2)
	v_add_f32_e32 v14, v14, v21
	v_mul_f32_e32 v13, 0x3fb8aa3b, v9
	s_delay_alu instid0(VALU_DEP_3) | instskip(SKIP_1) | instid1(VALU_DEP_3)
	v_fma_f32 v17, 0x3fb8aa3b, v8, -v12
	v_rndne_f32_e32 v18, v12
	v_fma_f32 v19, 0x3fb8aa3b, v9, -v13
	v_rndne_f32_e32 v20, v13
	v_exp_f32_e32 v14, v14
	s_delay_alu instid0(VALU_DEP_3) | instskip(SKIP_2) | instid1(VALU_DEP_3)
	v_dual_fmac_f32 v17, 0x32a5705f, v8 :: v_dual_sub_f32 v12, v12, v18
	v_sub_f32_e32 v7, v7, v11
	v_fmac_f32_e32 v19, 0x32a5705f, v9
	v_dual_sub_f32 v13, v13, v20 :: v_dual_add_f32 v12, v12, v17
	s_delay_alu instid0(VALU_DEP_3) | instskip(SKIP_1) | instid1(VALU_DEP_3)
	v_mul_f32_e32 v11, 0x3fb8aa3b, v7
	v_cmp_ngt_f32_e32 vcc_lo, 0xc2ce8ed0, v7
	v_add_f32_e32 v13, v13, v19
	v_cvt_i32_f32_e32 v17, v20
	v_exp_f32_e32 v12, v12
	v_fma_f32 v15, 0x3fb8aa3b, v7, -v11
	v_rndne_f32_e32 v16, v11
	v_exp_f32_e32 v13, v13
	s_delay_alu instid0(VALU_DEP_2) | instskip(NEXT) | instid1(VALU_DEP_2)
	v_fmac_f32_e32 v15, 0x32a5705f, v7
	v_sub_f32_e32 v11, v11, v16
	s_delay_alu instid0(VALU_DEP_1)
	v_add_f32_e32 v11, v11, v15
	v_cvt_i32_f32_e32 v15, v16
	v_cvt_i32_f32_e32 v16, v18
	s_waitcnt_depctr 0xfff
	v_ldexp_f32 v13, v13, v17
	v_cvt_i32_f32_e32 v18, v22
	v_exp_f32_e32 v11, v11
	v_ldexp_f32 v12, v12, v16
	s_delay_alu instid0(VALU_DEP_2) | instskip(SKIP_2) | instid1(VALU_DEP_1)
	v_ldexp_f32 v14, v14, v18
	s_waitcnt_depctr 0xfff
	v_ldexp_f32 v11, v11, v15
	v_cndmask_b32_e32 v11, 0, v11, vcc_lo
	v_cmp_ngt_f32_e32 vcc_lo, 0xc2ce8ed0, v8
	v_cndmask_b32_e32 v12, 0, v12, vcc_lo
	v_cmp_ngt_f32_e32 vcc_lo, 0xc2ce8ed0, v9
	v_cndmask_b32_e32 v13, 0, v13, vcc_lo
	v_cmp_nlt_f32_e32 vcc_lo, 0x42b17218, v7
	v_cndmask_b32_e32 v7, 0x7f800000, v11, vcc_lo
	v_cmp_nlt_f32_e32 vcc_lo, 0x42b17218, v8
	v_cndmask_b32_e32 v8, 0x7f800000, v12, vcc_lo
	v_cmp_ngt_f32_e32 vcc_lo, 0xc2ce8ed0, v10
	s_delay_alu instid0(VALU_DEP_2) | instskip(SKIP_3) | instid1(VALU_DEP_2)
	v_dual_add_f32 v12, v7, v8 :: v_dual_cndmask_b32 v11, 0, v14
	v_cmp_nlt_f32_e32 vcc_lo, 0x42b17218, v9
	v_cndmask_b32_e32 v9, 0x7f800000, v13, vcc_lo
	v_cmp_nlt_f32_e32 vcc_lo, 0x42b17218, v10
	v_dual_cndmask_b32 v10, 0x7f800000, v11 :: v_dual_add_f32 v11, v12, v9
	s_delay_alu instid0(VALU_DEP_1)
	v_add_f32_e32 v11, v11, v10
	ds_bpermute_b32 v12, v3, v11
	s_waitcnt lgkmcnt(0)
	v_add_f32_e32 v11, v11, v12
	ds_bpermute_b32 v12, v4, v11
	s_waitcnt lgkmcnt(0)
	v_add_f32_e32 v11, v11, v12
	s_delay_alu instid0(VALU_DEP_1) | instskip(SKIP_1) | instid1(VALU_DEP_2)
	v_div_scale_f32 v12, null, v11, v11, 1.0
	v_div_scale_f32 v15, vcc_lo, 1.0, v11, 1.0
	v_rcp_f32_e32 v13, v12
	s_waitcnt_depctr 0xfff
	v_fma_f32 v14, -v12, v13, 1.0
	s_delay_alu instid0(VALU_DEP_1) | instskip(NEXT) | instid1(VALU_DEP_1)
	v_fmac_f32_e32 v13, v14, v13
	v_mul_f32_e32 v14, v15, v13
	s_delay_alu instid0(VALU_DEP_1) | instskip(NEXT) | instid1(VALU_DEP_1)
	v_fma_f32 v16, -v12, v14, v15
	v_fmac_f32_e32 v14, v16, v13
	s_delay_alu instid0(VALU_DEP_1) | instskip(NEXT) | instid1(VALU_DEP_1)
	v_fma_f32 v12, -v12, v14, v15
	v_div_fmas_f32 v12, v12, v13, v14
	s_delay_alu instid0(VALU_DEP_1) | instskip(NEXT) | instid1(VALU_DEP_1)
	v_div_fixup_f32 v11, v12, v11, 1.0
	v_mul_f32_e32 v5, v11, v7
	v_mul_f32_e32 v6, v11, v8
	;; [unrolled: 1-line block ×4, first 2 shown]
	ds_store_b128 v0, v[5:8]
	s_cbranch_scc1 .LBB33_18
; %bb.4:
	s_load_b128 s[8:11], s[2:3], 0x20
	v_mul_lo_u32 v5, v1, s4
	v_dual_mov_b32 v7, 0xc61c4000 :: v_dual_lshlrev_b32 v6, 2, v2
	v_cmp_eq_u32_e32 vcc_lo, 0, v2
	s_branch .LBB33_6
.LBB33_5:                               ;   in Loop: Header=BB33_6 Depth=1
	s_or_b32 exec_lo, exec_lo, s0
	v_add_nc_u32_e32 v1, s14, v1
	s_cmp_lg_u32 s4, s7
	s_cbranch_scc0 .LBB33_18
.LBB33_6:                               ; =>This Inner Loop Header: Depth=1
	ds_load_b128 v[8:11], v0
	s_mov_b32 s3, exec_lo
	s_waitcnt lgkmcnt(0)
	v_cmp_gt_f32_e64 s0, v9, v8
	s_delay_alu instid0(VALU_DEP_1) | instskip(SKIP_1) | instid1(VALU_DEP_2)
	v_cndmask_b32_e64 v8, v8, v9, s0
	v_cndmask_b32_e64 v9, 0, 1, s0
	v_cmp_gt_f32_e64 s0, v10, v8
	s_delay_alu instid0(VALU_DEP_1) | instskip(NEXT) | instid1(VALU_DEP_3)
	v_cndmask_b32_e64 v8, v8, v10, s0
	v_cndmask_b32_e64 v10, v9, 2, s0
	s_delay_alu instid0(VALU_DEP_2) | instskip(NEXT) | instid1(VALU_DEP_1)
	v_cmp_gt_f32_e64 s0, v11, v8
	v_cndmask_b32_e64 v9, v8, v11, s0
	s_delay_alu instid0(VALU_DEP_3)
	v_cndmask_b32_e64 v8, v10, 3, s0
	ds_bpermute_b32 v10, v3, v9
	v_or_b32_e32 v8, v6, v8
	ds_bpermute_b32 v11, v3, v8
	s_waitcnt lgkmcnt(1)
	v_cmp_lt_f32_e64 s2, v9, v10
	v_cmpx_nlt_f32_e32 v9, v10
	s_cbranch_execz .LBB33_8
; %bb.7:                                ;   in Loop: Header=BB33_6 Depth=1
	v_cmp_eq_f32_e64 s0, v9, v10
	s_waitcnt lgkmcnt(0)
	v_cmp_lt_i32_e64 s1, v11, v8
	s_delay_alu instid0(VALU_DEP_1) | instskip(SKIP_2) | instid1(SALU_CYCLE_1)
	s_and_b32 s0, s0, s1
	s_and_not1_b32 s1, s2, exec_lo
	s_and_b32 s0, s0, exec_lo
	s_or_b32 s2, s1, s0
.LBB33_8:                               ;   in Loop: Header=BB33_6 Depth=1
	s_or_b32 exec_lo, exec_lo, s3
	s_delay_alu instid0(VALU_DEP_2)
	s_and_saveexec_b32 s0, s2
	s_cbranch_execz .LBB33_10
; %bb.9:                                ;   in Loop: Header=BB33_6 Depth=1
	s_waitcnt lgkmcnt(0)
	v_dual_mov_b32 v9, v10 :: v_dual_mov_b32 v8, v11
.LBB33_10:                              ;   in Loop: Header=BB33_6 Depth=1
	s_or_b32 exec_lo, exec_lo, s0
	ds_bpermute_b32 v10, v4, v9
	s_waitcnt lgkmcnt(1)
	ds_bpermute_b32 v11, v4, v8
	s_mov_b32 s3, exec_lo
	s_waitcnt lgkmcnt(1)
	v_cmp_lt_f32_e64 s2, v9, v10
	v_cmpx_nlt_f32_e32 v9, v10
	s_cbranch_execnz .LBB33_16
; %bb.11:                               ;   in Loop: Header=BB33_6 Depth=1
	s_or_b32 exec_lo, exec_lo, s3
	s_delay_alu instid0(VALU_DEP_2)
	s_and_saveexec_b32 s0, s2
	s_cbranch_execnz .LBB33_17
.LBB33_12:                              ;   in Loop: Header=BB33_6 Depth=1
	s_or_b32 exec_lo, exec_lo, s0
	s_and_saveexec_b32 s2, vcc_lo
	s_cbranch_execz .LBB33_14
.LBB33_13:                              ;   in Loop: Header=BB33_6 Depth=1
	v_add_nc_u32_e32 v10, s7, v5
	v_cmp_le_i32_e64 s0, s5, v8
	v_cmp_gt_i32_e64 s1, s6, v8
	v_subrev_nc_u32_e32 v12, s5, v8
	s_waitcnt lgkmcnt(0)
	v_ashrrev_i32_e32 v11, 31, v10
	s_delay_alu instid0(VALU_DEP_3) | instskip(NEXT) | instid1(SALU_CYCLE_1)
	s_and_b32 s0, s0, s1
	s_and_b32 s0, s15, s0
	s_delay_alu instid0(VALU_DEP_1) | instskip(SKIP_1) | instid1(VALU_DEP_2)
	v_lshlrev_b64 v[10:11], 2, v[10:11]
	v_cndmask_b32_e64 v16, 16, v12, s0
	v_add_co_u32 v12, s0, s12, v10
	s_delay_alu instid0(VALU_DEP_1) | instskip(SKIP_1) | instid1(VALU_DEP_1)
	v_add_co_ci_u32_e64 v13, s0, s13, v11, s0
	v_add_co_u32 v14, s0, s8, v10
	v_add_co_ci_u32_e64 v15, s0, s9, v11, s0
	v_add_co_u32 v10, s0, s10, v10
	s_delay_alu instid0(VALU_DEP_1)
	v_add_co_ci_u32_e64 v11, s0, s11, v11, s0
	global_store_b32 v[12:13], v9, off
	global_store_b32 v[14:15], v16, off
	;; [unrolled: 1-line block ×3, first 2 shown]
.LBB33_14:                              ;   in Loop: Header=BB33_6 Depth=1
	s_or_b32 exec_lo, exec_lo, s2
	v_ashrrev_i32_e32 v9, 31, v8
	s_add_i32 s7, s7, 1
	s_delay_alu instid0(SALU_CYCLE_1) | instskip(SKIP_1) | instid1(VALU_DEP_1)
	s_cmp_lt_i32 s7, s4
	s_cselect_b32 s1, -1, 0
	v_lshrrev_b32_e32 v10, 30, v9
	s_delay_alu instid0(VALU_DEP_1) | instskip(NEXT) | instid1(VALU_DEP_1)
	v_add_nc_u32_e32 v10, v8, v10
	v_ashrrev_i32_e32 v10, 2, v10
	s_waitcnt lgkmcnt(0)
	s_delay_alu instid0(VALU_DEP_1) | instskip(NEXT) | instid1(VALU_DEP_1)
	v_lshrrev_b32_e32 v11, 30, v10
	v_add_nc_u32_e32 v11, v10, v11
	s_delay_alu instid0(VALU_DEP_1) | instskip(NEXT) | instid1(VALU_DEP_1)
	v_and_b32_e32 v11, -4, v11
	v_sub_nc_u32_e32 v11, v10, v11
	s_delay_alu instid0(VALU_DEP_1) | instskip(NEXT) | instid1(VALU_DEP_1)
	v_cmp_eq_u32_e64 s0, v2, v11
	s_and_b32 s1, s1, s0
	s_delay_alu instid0(SALU_CYCLE_1)
	s_and_saveexec_b32 s0, s1
	s_cbranch_execz .LBB33_5
; %bb.15:                               ;   in Loop: Header=BB33_6 Depth=1
	v_lshrrev_b32_e32 v9, 28, v9
	v_lshlrev_b32_e32 v10, 2, v10
	s_delay_alu instid0(VALU_DEP_2) | instskip(NEXT) | instid1(VALU_DEP_2)
	v_add_nc_u32_e32 v9, v8, v9
	v_sub_nc_u32_e32 v8, v8, v10
	s_delay_alu instid0(VALU_DEP_2) | instskip(NEXT) | instid1(VALU_DEP_1)
	v_lshrrev_b32_e32 v9, 2, v9
	v_and_b32_e32 v9, 0x3ffffffc, v9
	s_delay_alu instid0(VALU_DEP_1) | instskip(NEXT) | instid1(VALU_DEP_1)
	v_add_nc_u32_e32 v8, v9, v8
	v_lshl_add_u32 v8, v8, 2, v0
	ds_store_b32 v8, v7
	s_branch .LBB33_5
.LBB33_16:                              ;   in Loop: Header=BB33_6 Depth=1
	v_cmp_eq_f32_e64 s0, v9, v10
	s_waitcnt lgkmcnt(0)
	v_cmp_lt_i32_e64 s1, v11, v8
	s_delay_alu instid0(VALU_DEP_1) | instskip(SKIP_2) | instid1(SALU_CYCLE_1)
	s_and_b32 s0, s0, s1
	s_and_not1_b32 s1, s2, exec_lo
	s_and_b32 s0, s0, exec_lo
	s_or_b32 s2, s1, s0
	s_or_b32 exec_lo, exec_lo, s3
	s_and_saveexec_b32 s0, s2
	s_cbranch_execz .LBB33_12
.LBB33_17:                              ;   in Loop: Header=BB33_6 Depth=1
	s_waitcnt lgkmcnt(0)
	v_dual_mov_b32 v9, v10 :: v_dual_mov_b32 v8, v11
	s_or_b32 exec_lo, exec_lo, s0
	s_and_saveexec_b32 s2, vcc_lo
	s_cbranch_execnz .LBB33_13
	s_branch .LBB33_14
.LBB33_18:
	s_nop 0
	s_sendmsg sendmsg(MSG_DEALLOC_VGPRS)
	s_endpgm
	.section	.rodata,"a",@progbits
	.p2align	6, 0x0
	.amdhsa_kernel _ZN4vllm3moe17topkGatingSoftmaxILi4ELi16ELi4ELi16ELi32EjEEvPKfPKbPfiPT4_Piiii
		.amdhsa_group_segment_fixed_size 2048
		.amdhsa_private_segment_fixed_size 0
		.amdhsa_kernarg_size 60
		.amdhsa_user_sgpr_count 15
		.amdhsa_user_sgpr_dispatch_ptr 1
		.amdhsa_user_sgpr_queue_ptr 0
		.amdhsa_user_sgpr_kernarg_segment_ptr 1
		.amdhsa_user_sgpr_dispatch_id 0
		.amdhsa_user_sgpr_private_segment_size 0
		.amdhsa_wavefront_size32 1
		.amdhsa_uses_dynamic_stack 0
		.amdhsa_enable_private_segment 0
		.amdhsa_system_sgpr_workgroup_id_x 1
		.amdhsa_system_sgpr_workgroup_id_y 0
		.amdhsa_system_sgpr_workgroup_id_z 0
		.amdhsa_system_sgpr_workgroup_info 0
		.amdhsa_system_vgpr_workitem_id 2
		.amdhsa_next_free_vgpr 23
		.amdhsa_next_free_sgpr 16
		.amdhsa_reserve_vcc 1
		.amdhsa_float_round_mode_32 0
		.amdhsa_float_round_mode_16_64 0
		.amdhsa_float_denorm_mode_32 3
		.amdhsa_float_denorm_mode_16_64 3
		.amdhsa_dx10_clamp 1
		.amdhsa_ieee_mode 1
		.amdhsa_fp16_overflow 0
		.amdhsa_workgroup_processor_mode 1
		.amdhsa_memory_ordered 1
		.amdhsa_forward_progress 0
		.amdhsa_shared_vgpr_count 0
		.amdhsa_exception_fp_ieee_invalid_op 0
		.amdhsa_exception_fp_denorm_src 0
		.amdhsa_exception_fp_ieee_div_zero 0
		.amdhsa_exception_fp_ieee_overflow 0
		.amdhsa_exception_fp_ieee_underflow 0
		.amdhsa_exception_fp_ieee_inexact 0
		.amdhsa_exception_int_div_zero 0
	.end_amdhsa_kernel
	.section	.text._ZN4vllm3moe17topkGatingSoftmaxILi4ELi16ELi4ELi16ELi32EjEEvPKfPKbPfiPT4_Piiii,"axG",@progbits,_ZN4vllm3moe17topkGatingSoftmaxILi4ELi16ELi4ELi16ELi32EjEEvPKfPKbPfiPT4_Piiii,comdat
.Lfunc_end33:
	.size	_ZN4vllm3moe17topkGatingSoftmaxILi4ELi16ELi4ELi16ELi32EjEEvPKfPKbPfiPT4_Piiii, .Lfunc_end33-_ZN4vllm3moe17topkGatingSoftmaxILi4ELi16ELi4ELi16ELi32EjEEvPKfPKbPfiPT4_Piiii
                                        ; -- End function
	.section	.AMDGPU.csdata,"",@progbits
; Kernel info:
; codeLenInByte = 1740
; NumSgprs: 18
; NumVgprs: 23
; ScratchSize: 0
; MemoryBound: 0
; FloatMode: 240
; IeeeMode: 1
; LDSByteSize: 2048 bytes/workgroup (compile time only)
; SGPRBlocks: 2
; VGPRBlocks: 2
; NumSGPRsForWavesPerEU: 18
; NumVGPRsForWavesPerEU: 23
; Occupancy: 16
; WaveLimiterHint : 0
; COMPUTE_PGM_RSRC2:SCRATCH_EN: 0
; COMPUTE_PGM_RSRC2:USER_SGPR: 15
; COMPUTE_PGM_RSRC2:TRAP_HANDLER: 0
; COMPUTE_PGM_RSRC2:TGID_X_EN: 1
; COMPUTE_PGM_RSRC2:TGID_Y_EN: 0
; COMPUTE_PGM_RSRC2:TGID_Z_EN: 0
; COMPUTE_PGM_RSRC2:TIDIG_COMP_CNT: 2
	.section	.text._ZN4vllm3moe17topkGatingSoftmaxILi4ELi32ELi4ELi16ELi64EjEEvPKfPKbPfiPT4_Piiii,"axG",@progbits,_ZN4vllm3moe17topkGatingSoftmaxILi4ELi32ELi4ELi16ELi64EjEEvPKfPKbPfiPT4_Piiii,comdat
	.protected	_ZN4vllm3moe17topkGatingSoftmaxILi4ELi32ELi4ELi16ELi64EjEEvPKfPKbPfiPT4_Piiii ; -- Begin function _ZN4vllm3moe17topkGatingSoftmaxILi4ELi32ELi4ELi16ELi64EjEEvPKfPKbPfiPT4_Piiii
	.globl	_ZN4vllm3moe17topkGatingSoftmaxILi4ELi32ELi4ELi16ELi64EjEEvPKfPKbPfiPT4_Piiii
	.p2align	8
	.type	_ZN4vllm3moe17topkGatingSoftmaxILi4ELi32ELi4ELi16ELi64EjEEvPKfPKbPfiPT4_Piiii,@function
_ZN4vllm3moe17topkGatingSoftmaxILi4ELi32ELi4ELi16ELi64EjEEvPKfPKbPfiPT4_Piiii: ; @_ZN4vllm3moe17topkGatingSoftmaxILi4ELi32ELi4ELi16ELi64EjEEvPKfPKbPfiPT4_Piiii
; %bb.0:
	s_load_b32 s14, s[2:3], 0x18
	v_bfe_u32 v6, v0, 10, 10
	v_and_b32_e32 v7, 0x3ff, v0
	s_lshl_b32 s4, s15, 5
	s_delay_alu instid0(VALU_DEP_2) | instskip(NEXT) | instid1(VALU_DEP_2)
	v_lshlrev_b32_e32 v1, 3, v6
	v_lshrrev_b32_e32 v2, 3, v7
	s_delay_alu instid0(VALU_DEP_1) | instskip(SKIP_2) | instid1(VALU_DEP_1)
	v_add3_u32 v1, s4, v1, v2
	s_mov_b32 s4, exec_lo
	s_waitcnt lgkmcnt(0)
	v_cmpx_gt_i32_e64 s14, v1
	s_cbranch_execz .LBB34_22
; %bb.1:
	s_clause 0x1
	s_load_b128 s[4:7], s[2:3], 0x0
	s_load_b64 s[12:13], s[2:3], 0x10
	s_mov_b32 s15, -1
	s_waitcnt lgkmcnt(0)
	s_cmp_eq_u64 s[6:7], 0
	s_cbranch_scc1 .LBB34_3
; %bb.2:
	v_ashrrev_i32_e32 v3, 31, v1
	v_add_co_u32 v2, vcc_lo, s6, v1
	s_delay_alu instid0(VALU_DEP_2) | instskip(SKIP_3) | instid1(VALU_DEP_1)
	v_add_co_ci_u32_e32 v3, vcc_lo, s7, v3, vcc_lo
	global_load_u8 v2, v[2:3], off
	s_waitcnt vmcnt(0)
	v_and_b32_e32 v2, 1, v2
	v_cmp_eq_u32_e32 vcc_lo, 1, v2
	s_xor_b32 s6, vcc_lo, -1
	s_delay_alu instid0(SALU_CYCLE_1)
	s_or_not1_b32 s15, s6, exec_lo
.LBB34_3:
	v_lshlrev_b32_e32 v3, 5, v1
	v_and_b32_e32 v2, 7, v7
	s_load_b64 s[0:1], s[0:1], 0x4
	v_bfe_u32 v0, v0, 20, 10
	s_delay_alu instid0(VALU_DEP_3) | instskip(NEXT) | instid1(VALU_DEP_3)
	v_ashrrev_i32_e32 v4, 31, v3
	v_lshlrev_b32_e32 v5, 4, v2
	s_delay_alu instid0(VALU_DEP_2) | instskip(NEXT) | instid1(VALU_DEP_1)
	v_lshlrev_b64 v[3:4], 2, v[3:4]
	v_add_co_u32 v3, vcc_lo, s4, v3
	s_delay_alu instid0(VALU_DEP_2) | instskip(SKIP_1) | instid1(VALU_DEP_2)
	v_add_co_ci_u32_e32 v4, vcc_lo, s5, v4, vcc_lo
	s_load_b128 s[4:7], s[2:3], 0x30
	v_add_co_u32 v3, vcc_lo, v3, v5
	s_delay_alu instid0(VALU_DEP_2)
	v_add_co_ci_u32_e32 v4, vcc_lo, 0, v4, vcc_lo
	v_mbcnt_lo_u32_b32 v5, -1, 0
	s_waitcnt lgkmcnt(0)
	s_lshr_b32 s0, s0, 16
	s_mov_b32 s7, 0
	global_load_b128 v[8:11], v[3:4], off
	s_mul_i32 s0, s0, s1
	v_xor_b32_e32 v14, 2, v5
	v_and_b32_e32 v3, 24, v5
	v_xor_b32_e32 v4, 4, v5
	v_mul_lo_u32 v7, s0, v7
	s_delay_alu instid0(VALU_DEP_3) | instskip(SKIP_1) | instid1(VALU_DEP_2)
	v_add_nc_u32_e32 v12, 8, v3
	s_cmp_lt_i32 s4, 1
	v_mad_u32_u24 v6, v6, s1, v7
	s_delay_alu instid0(VALU_DEP_1)
	v_add_lshl_u32 v0, v6, v0, 4
	s_waitcnt vmcnt(0)
	v_max_f32_e32 v13, v8, v8
	v_cmp_lt_i32_e32 vcc_lo, v4, v12
	v_max_f32_e32 v3, v9, v9
	v_cndmask_b32_e32 v4, v5, v4, vcc_lo
	v_cmp_lt_i32_e32 vcc_lo, v14, v12
	v_cndmask_b32_e32 v14, v5, v14, vcc_lo
	s_delay_alu instid0(VALU_DEP_4) | instskip(NEXT) | instid1(VALU_DEP_4)
	v_max_f32_e32 v13, v13, v3
	v_lshlrev_b32_e32 v3, 2, v4
	s_delay_alu instid0(VALU_DEP_2) | instskip(SKIP_3) | instid1(VALU_DEP_1)
	v_max3_f32 v13, v13, v10, v11
	ds_bpermute_b32 v4, v3, v13
	s_waitcnt lgkmcnt(0)
	v_dual_max_f32 v15, v4, v4 :: v_dual_lshlrev_b32 v4, 2, v14
	v_max_f32_e32 v13, v13, v15
	v_xor_b32_e32 v15, 1, v5
	ds_bpermute_b32 v14, v4, v13
	v_cmp_lt_i32_e32 vcc_lo, v15, v12
	s_waitcnt lgkmcnt(0)
	v_max_f32_e32 v12, v14, v14
	s_delay_alu instid0(VALU_DEP_1) | instskip(SKIP_1) | instid1(VALU_DEP_1)
	v_max_f32_e32 v12, v13, v12
	v_cndmask_b32_e32 v5, v5, v15, vcc_lo
	v_lshlrev_b32_e32 v5, 2, v5
	ds_bpermute_b32 v13, v5, v12
	s_waitcnt lgkmcnt(0)
	v_max_f32_e32 v13, v13, v13
	s_delay_alu instid0(VALU_DEP_1) | instskip(NEXT) | instid1(VALU_DEP_1)
	v_max_f32_e32 v12, v12, v13
	v_sub_f32_e32 v8, v8, v12
	v_sub_f32_e32 v9, v9, v12
	;; [unrolled: 1-line block ×4, first 2 shown]
	s_delay_alu instid0(VALU_DEP_4) | instskip(SKIP_1) | instid1(VALU_DEP_4)
	v_mul_f32_e32 v12, 0x3fb8aa3b, v8
	v_cmp_ngt_f32_e32 vcc_lo, 0xc2ce8ed0, v8
	v_mul_f32_e32 v14, 0x3fb8aa3b, v10
	s_delay_alu instid0(VALU_DEP_3) | instskip(SKIP_1) | instid1(VALU_DEP_3)
	v_fma_f32 v16, 0x3fb8aa3b, v8, -v12
	v_rndne_f32_e32 v17, v12
	v_rndne_f32_e32 v21, v14
	v_fma_f32 v20, 0x3fb8aa3b, v10, -v14
	s_delay_alu instid0(VALU_DEP_4) | instskip(NEXT) | instid1(VALU_DEP_4)
	v_fmac_f32_e32 v16, 0x32a5705f, v8
	v_sub_f32_e32 v12, v12, v17
	v_mul_f32_e32 v13, 0x3fb8aa3b, v9
	v_sub_f32_e32 v14, v14, v21
	s_delay_alu instid0(VALU_DEP_3) | instskip(NEXT) | instid1(VALU_DEP_3)
	v_add_f32_e32 v12, v12, v16
	v_fma_f32 v18, 0x3fb8aa3b, v9, -v13
	v_rndne_f32_e32 v19, v13
	v_cvt_i32_f32_e32 v16, v17
	s_delay_alu instid0(VALU_DEP_4) | instskip(NEXT) | instid1(VALU_DEP_3)
	v_exp_f32_e32 v12, v12
	v_fmac_f32_e32 v18, 0x32a5705f, v9
	v_mul_f32_e32 v15, 0x3fb8aa3b, v11
	v_sub_f32_e32 v13, v13, v19
	v_cvt_i32_f32_e32 v17, v19
	s_delay_alu instid0(VALU_DEP_3) | instskip(SKIP_3) | instid1(TRANS32_DEP_1)
	v_fma_f32 v22, 0x3fb8aa3b, v11, -v15
	v_rndne_f32_e32 v23, v15
	v_fmac_f32_e32 v20, 0x32a5705f, v10
	v_add_f32_e32 v13, v13, v18
	v_ldexp_f32 v12, v12, v16
	v_fmac_f32_e32 v22, 0x32a5705f, v11
	s_delay_alu instid0(VALU_DEP_4) | instskip(NEXT) | instid1(VALU_DEP_4)
	v_dual_sub_f32 v15, v15, v23 :: v_dual_add_f32 v14, v14, v20
	v_exp_f32_e32 v13, v13
	v_cvt_i32_f32_e32 v18, v21
	v_cvt_i32_f32_e32 v19, v23
	s_delay_alu instid0(VALU_DEP_3) | instskip(SKIP_1) | instid1(VALU_DEP_1)
	v_add_f32_e32 v15, v15, v22
	v_exp_f32_e32 v14, v14
	v_exp_f32_e32 v15, v15
	s_delay_alu instid0(TRANS32_DEP_3)
	v_ldexp_f32 v13, v13, v17
	v_cndmask_b32_e32 v12, 0, v12, vcc_lo
	v_cmp_ngt_f32_e32 vcc_lo, 0xc2ce8ed0, v9
	s_waitcnt_depctr 0xfff
	v_ldexp_f32 v14, v14, v18
	v_cndmask_b32_e32 v13, 0, v13, vcc_lo
	v_cmp_ngt_f32_e32 vcc_lo, 0xc2ce8ed0, v10
	v_ldexp_f32 v15, v15, v19
	s_delay_alu instid0(VALU_DEP_4)
	v_cndmask_b32_e32 v14, 0, v14, vcc_lo
	v_cmp_nlt_f32_e32 vcc_lo, 0x42b17218, v8
	v_cndmask_b32_e32 v8, 0x7f800000, v12, vcc_lo
	v_cmp_nlt_f32_e32 vcc_lo, 0x42b17218, v9
	v_cndmask_b32_e32 v9, 0x7f800000, v13, vcc_lo
	v_cmp_ngt_f32_e32 vcc_lo, 0xc2ce8ed0, v11
	s_delay_alu instid0(VALU_DEP_2) | instskip(SKIP_3) | instid1(VALU_DEP_2)
	v_dual_add_f32 v13, v8, v9 :: v_dual_cndmask_b32 v12, 0, v15
	v_cmp_nlt_f32_e32 vcc_lo, 0x42b17218, v10
	v_cndmask_b32_e32 v10, 0x7f800000, v14, vcc_lo
	v_cmp_nlt_f32_e32 vcc_lo, 0x42b17218, v11
	v_dual_cndmask_b32 v11, 0x7f800000, v12 :: v_dual_add_f32 v12, v13, v10
	s_delay_alu instid0(VALU_DEP_1)
	v_add_f32_e32 v12, v12, v11
	ds_bpermute_b32 v13, v3, v12
	s_waitcnt lgkmcnt(0)
	v_add_f32_e32 v12, v12, v13
	ds_bpermute_b32 v13, v4, v12
	s_waitcnt lgkmcnt(0)
	;; [unrolled: 3-line block ×3, first 2 shown]
	v_add_f32_e32 v12, v12, v13
	s_delay_alu instid0(VALU_DEP_1) | instskip(SKIP_1) | instid1(VALU_DEP_2)
	v_div_scale_f32 v13, null, v12, v12, 1.0
	v_div_scale_f32 v16, vcc_lo, 1.0, v12, 1.0
	v_rcp_f32_e32 v14, v13
	s_waitcnt_depctr 0xfff
	v_fma_f32 v15, -v13, v14, 1.0
	s_delay_alu instid0(VALU_DEP_1) | instskip(NEXT) | instid1(VALU_DEP_1)
	v_fmac_f32_e32 v14, v15, v14
	v_mul_f32_e32 v15, v16, v14
	s_delay_alu instid0(VALU_DEP_1) | instskip(NEXT) | instid1(VALU_DEP_1)
	v_fma_f32 v17, -v13, v15, v16
	v_fmac_f32_e32 v15, v17, v14
	s_delay_alu instid0(VALU_DEP_1) | instskip(NEXT) | instid1(VALU_DEP_1)
	v_fma_f32 v13, -v13, v15, v16
	v_div_fmas_f32 v13, v13, v14, v15
	s_delay_alu instid0(VALU_DEP_1) | instskip(NEXT) | instid1(VALU_DEP_1)
	v_div_fixup_f32 v12, v13, v12, 1.0
	v_mul_f32_e32 v6, v12, v8
	v_mul_f32_e32 v7, v12, v9
	;; [unrolled: 1-line block ×4, first 2 shown]
	ds_store_b128 v0, v[6:9]
	s_cbranch_scc1 .LBB34_22
; %bb.4:
	s_load_b128 s[8:11], s[2:3], 0x20
	v_mul_lo_u32 v6, v1, s4
	v_dual_mov_b32 v8, 0xc61c4000 :: v_dual_lshlrev_b32 v7, 2, v2
	v_cmp_eq_u32_e32 vcc_lo, 0, v2
	s_branch .LBB34_6
.LBB34_5:                               ;   in Loop: Header=BB34_6 Depth=1
	s_or_b32 exec_lo, exec_lo, s0
	v_add_nc_u32_e32 v1, s14, v1
	s_cmp_lg_u32 s4, s7
	s_cbranch_scc0 .LBB34_22
.LBB34_6:                               ; =>This Inner Loop Header: Depth=1
	ds_load_b128 v[9:12], v0
	s_mov_b32 s3, exec_lo
	s_waitcnt lgkmcnt(0)
	v_cmp_gt_f32_e64 s0, v10, v9
	s_delay_alu instid0(VALU_DEP_1) | instskip(SKIP_1) | instid1(VALU_DEP_2)
	v_cndmask_b32_e64 v9, v9, v10, s0
	v_cndmask_b32_e64 v10, 0, 1, s0
	v_cmp_gt_f32_e64 s0, v11, v9
	s_delay_alu instid0(VALU_DEP_1) | instskip(NEXT) | instid1(VALU_DEP_3)
	v_cndmask_b32_e64 v9, v9, v11, s0
	v_cndmask_b32_e64 v11, v10, 2, s0
	s_delay_alu instid0(VALU_DEP_2) | instskip(NEXT) | instid1(VALU_DEP_1)
	v_cmp_gt_f32_e64 s0, v12, v9
	v_cndmask_b32_e64 v10, v9, v12, s0
	s_delay_alu instid0(VALU_DEP_3)
	v_cndmask_b32_e64 v9, v11, 3, s0
	ds_bpermute_b32 v11, v3, v10
	v_or_b32_e32 v9, v7, v9
	ds_bpermute_b32 v12, v3, v9
	s_waitcnt lgkmcnt(1)
	v_cmp_lt_f32_e64 s2, v10, v11
	v_cmpx_nlt_f32_e32 v10, v11
	s_cbranch_execz .LBB34_8
; %bb.7:                                ;   in Loop: Header=BB34_6 Depth=1
	v_cmp_eq_f32_e64 s0, v10, v11
	s_waitcnt lgkmcnt(0)
	v_cmp_lt_i32_e64 s1, v12, v9
	s_delay_alu instid0(VALU_DEP_1) | instskip(SKIP_2) | instid1(SALU_CYCLE_1)
	s_and_b32 s0, s0, s1
	s_and_not1_b32 s1, s2, exec_lo
	s_and_b32 s0, s0, exec_lo
	s_or_b32 s2, s1, s0
.LBB34_8:                               ;   in Loop: Header=BB34_6 Depth=1
	s_or_b32 exec_lo, exec_lo, s3
	s_delay_alu instid0(VALU_DEP_2)
	s_and_saveexec_b32 s0, s2
	s_cbranch_execz .LBB34_10
; %bb.9:                                ;   in Loop: Header=BB34_6 Depth=1
	s_waitcnt lgkmcnt(0)
	v_dual_mov_b32 v10, v11 :: v_dual_mov_b32 v9, v12
.LBB34_10:                              ;   in Loop: Header=BB34_6 Depth=1
	s_or_b32 exec_lo, exec_lo, s0
	s_waitcnt lgkmcnt(0)
	ds_bpermute_b32 v12, v4, v10
	ds_bpermute_b32 v11, v4, v9
	s_mov_b32 s3, exec_lo
	s_waitcnt lgkmcnt(1)
	v_cmp_lt_f32_e64 s2, v10, v12
	v_cmpx_nlt_f32_e32 v10, v12
	s_cbranch_execz .LBB34_12
; %bb.11:                               ;   in Loop: Header=BB34_6 Depth=1
	v_cmp_eq_f32_e64 s0, v10, v12
	s_waitcnt lgkmcnt(0)
	v_cmp_lt_i32_e64 s1, v11, v9
	s_delay_alu instid0(VALU_DEP_1) | instskip(SKIP_2) | instid1(SALU_CYCLE_1)
	s_and_b32 s0, s0, s1
	s_and_not1_b32 s1, s2, exec_lo
	s_and_b32 s0, s0, exec_lo
	s_or_b32 s2, s1, s0
.LBB34_12:                              ;   in Loop: Header=BB34_6 Depth=1
	s_or_b32 exec_lo, exec_lo, s3
	s_delay_alu instid0(VALU_DEP_2)
	s_and_saveexec_b32 s0, s2
	s_cbranch_execz .LBB34_14
; %bb.13:                               ;   in Loop: Header=BB34_6 Depth=1
	s_waitcnt lgkmcnt(0)
	v_dual_mov_b32 v10, v12 :: v_dual_mov_b32 v9, v11
.LBB34_14:                              ;   in Loop: Header=BB34_6 Depth=1
	s_or_b32 exec_lo, exec_lo, s0
	s_waitcnt lgkmcnt(0)
	ds_bpermute_b32 v11, v5, v10
	ds_bpermute_b32 v12, v5, v9
	s_mov_b32 s3, exec_lo
	s_waitcnt lgkmcnt(1)
	v_cmp_lt_f32_e64 s2, v10, v11
	v_cmpx_nlt_f32_e32 v10, v11
	s_cbranch_execnz .LBB34_20
; %bb.15:                               ;   in Loop: Header=BB34_6 Depth=1
	s_or_b32 exec_lo, exec_lo, s3
	s_delay_alu instid0(VALU_DEP_2)
	s_and_saveexec_b32 s0, s2
	s_cbranch_execnz .LBB34_21
.LBB34_16:                              ;   in Loop: Header=BB34_6 Depth=1
	s_or_b32 exec_lo, exec_lo, s0
	s_and_saveexec_b32 s2, vcc_lo
	s_cbranch_execz .LBB34_18
.LBB34_17:                              ;   in Loop: Header=BB34_6 Depth=1
	v_add_nc_u32_e32 v11, s7, v6
	v_cmp_le_i32_e64 s0, s5, v9
	v_cmp_gt_i32_e64 s1, s6, v9
	v_subrev_nc_u32_e32 v13, s5, v9
	s_waitcnt lgkmcnt(0)
	v_ashrrev_i32_e32 v12, 31, v11
	s_delay_alu instid0(VALU_DEP_3) | instskip(NEXT) | instid1(SALU_CYCLE_1)
	s_and_b32 s0, s0, s1
	s_and_b32 s0, s15, s0
	s_delay_alu instid0(VALU_DEP_1) | instskip(SKIP_1) | instid1(VALU_DEP_2)
	v_lshlrev_b64 v[11:12], 2, v[11:12]
	v_cndmask_b32_e64 v17, 32, v13, s0
	v_add_co_u32 v13, s0, s12, v11
	s_delay_alu instid0(VALU_DEP_1) | instskip(SKIP_1) | instid1(VALU_DEP_1)
	v_add_co_ci_u32_e64 v14, s0, s13, v12, s0
	v_add_co_u32 v15, s0, s8, v11
	v_add_co_ci_u32_e64 v16, s0, s9, v12, s0
	v_add_co_u32 v11, s0, s10, v11
	s_delay_alu instid0(VALU_DEP_1)
	v_add_co_ci_u32_e64 v12, s0, s11, v12, s0
	global_store_b32 v[13:14], v10, off
	global_store_b32 v[15:16], v17, off
	;; [unrolled: 1-line block ×3, first 2 shown]
.LBB34_18:                              ;   in Loop: Header=BB34_6 Depth=1
	s_or_b32 exec_lo, exec_lo, s2
	v_ashrrev_i32_e32 v11, 31, v9
	s_add_i32 s7, s7, 1
	s_delay_alu instid0(SALU_CYCLE_1) | instskip(SKIP_1) | instid1(VALU_DEP_1)
	s_cmp_lt_i32 s7, s4
	s_cselect_b32 s1, -1, 0
	v_lshrrev_b32_e32 v10, 30, v11
	s_delay_alu instid0(VALU_DEP_1) | instskip(NEXT) | instid1(VALU_DEP_1)
	v_add_nc_u32_e32 v10, v9, v10
	v_ashrrev_i32_e32 v10, 2, v10
	s_waitcnt lgkmcnt(0)
	s_delay_alu instid0(VALU_DEP_1) | instskip(NEXT) | instid1(VALU_DEP_1)
	v_lshrrev_b32_e32 v12, 29, v10
	v_add_nc_u32_e32 v12, v10, v12
	s_delay_alu instid0(VALU_DEP_1) | instskip(NEXT) | instid1(VALU_DEP_1)
	v_and_b32_e32 v12, -8, v12
	v_sub_nc_u32_e32 v12, v10, v12
	s_delay_alu instid0(VALU_DEP_1) | instskip(NEXT) | instid1(VALU_DEP_1)
	v_cmp_eq_u32_e64 s0, v2, v12
	s_and_b32 s1, s1, s0
	s_delay_alu instid0(SALU_CYCLE_1)
	s_and_saveexec_b32 s0, s1
	s_cbranch_execz .LBB34_5
; %bb.19:                               ;   in Loop: Header=BB34_6 Depth=1
	v_lshrrev_b32_e32 v11, 27, v11
	v_lshlrev_b32_e32 v10, 2, v10
	s_delay_alu instid0(VALU_DEP_2) | instskip(NEXT) | instid1(VALU_DEP_2)
	v_add_nc_u32_e32 v11, v9, v11
	v_sub_nc_u32_e32 v9, v9, v10
	s_delay_alu instid0(VALU_DEP_2) | instskip(NEXT) | instid1(VALU_DEP_1)
	v_ashrrev_i32_e32 v11, 5, v11
	v_lshl_add_u32 v9, v11, 2, v9
	s_delay_alu instid0(VALU_DEP_1)
	v_lshl_add_u32 v9, v9, 2, v0
	ds_store_b32 v9, v8
	s_branch .LBB34_5
.LBB34_20:                              ;   in Loop: Header=BB34_6 Depth=1
	v_cmp_eq_f32_e64 s0, v10, v11
	s_waitcnt lgkmcnt(0)
	v_cmp_lt_i32_e64 s1, v12, v9
	s_delay_alu instid0(VALU_DEP_1) | instskip(SKIP_2) | instid1(SALU_CYCLE_1)
	s_and_b32 s0, s0, s1
	s_and_not1_b32 s1, s2, exec_lo
	s_and_b32 s0, s0, exec_lo
	s_or_b32 s2, s1, s0
	s_or_b32 exec_lo, exec_lo, s3
	s_and_saveexec_b32 s0, s2
	s_cbranch_execz .LBB34_16
.LBB34_21:                              ;   in Loop: Header=BB34_6 Depth=1
	s_waitcnt lgkmcnt(0)
	v_dual_mov_b32 v10, v11 :: v_dual_mov_b32 v9, v12
	s_or_b32 exec_lo, exec_lo, s0
	s_and_saveexec_b32 s2, vcc_lo
	s_cbranch_execnz .LBB34_17
	s_branch .LBB34_18
.LBB34_22:
	s_nop 0
	s_sendmsg sendmsg(MSG_DEALLOC_VGPRS)
	s_endpgm
	.section	.rodata,"a",@progbits
	.p2align	6, 0x0
	.amdhsa_kernel _ZN4vllm3moe17topkGatingSoftmaxILi4ELi32ELi4ELi16ELi64EjEEvPKfPKbPfiPT4_Piiii
		.amdhsa_group_segment_fixed_size 4096
		.amdhsa_private_segment_fixed_size 0
		.amdhsa_kernarg_size 60
		.amdhsa_user_sgpr_count 15
		.amdhsa_user_sgpr_dispatch_ptr 1
		.amdhsa_user_sgpr_queue_ptr 0
		.amdhsa_user_sgpr_kernarg_segment_ptr 1
		.amdhsa_user_sgpr_dispatch_id 0
		.amdhsa_user_sgpr_private_segment_size 0
		.amdhsa_wavefront_size32 1
		.amdhsa_uses_dynamic_stack 0
		.amdhsa_enable_private_segment 0
		.amdhsa_system_sgpr_workgroup_id_x 1
		.amdhsa_system_sgpr_workgroup_id_y 0
		.amdhsa_system_sgpr_workgroup_id_z 0
		.amdhsa_system_sgpr_workgroup_info 0
		.amdhsa_system_vgpr_workitem_id 2
		.amdhsa_next_free_vgpr 24
		.amdhsa_next_free_sgpr 16
		.amdhsa_reserve_vcc 1
		.amdhsa_float_round_mode_32 0
		.amdhsa_float_round_mode_16_64 0
		.amdhsa_float_denorm_mode_32 3
		.amdhsa_float_denorm_mode_16_64 3
		.amdhsa_dx10_clamp 1
		.amdhsa_ieee_mode 1
		.amdhsa_fp16_overflow 0
		.amdhsa_workgroup_processor_mode 1
		.amdhsa_memory_ordered 1
		.amdhsa_forward_progress 0
		.amdhsa_shared_vgpr_count 0
		.amdhsa_exception_fp_ieee_invalid_op 0
		.amdhsa_exception_fp_denorm_src 0
		.amdhsa_exception_fp_ieee_div_zero 0
		.amdhsa_exception_fp_ieee_overflow 0
		.amdhsa_exception_fp_ieee_underflow 0
		.amdhsa_exception_fp_ieee_inexact 0
		.amdhsa_exception_int_div_zero 0
	.end_amdhsa_kernel
	.section	.text._ZN4vllm3moe17topkGatingSoftmaxILi4ELi32ELi4ELi16ELi64EjEEvPKfPKbPfiPT4_Piiii,"axG",@progbits,_ZN4vllm3moe17topkGatingSoftmaxILi4ELi32ELi4ELi16ELi64EjEEvPKfPKbPfiPT4_Piiii,comdat
.Lfunc_end34:
	.size	_ZN4vllm3moe17topkGatingSoftmaxILi4ELi32ELi4ELi16ELi64EjEEvPKfPKbPfiPT4_Piiii, .Lfunc_end34-_ZN4vllm3moe17topkGatingSoftmaxILi4ELi32ELi4ELi16ELi64EjEEvPKfPKbPfiPT4_Piiii
                                        ; -- End function
	.section	.AMDGPU.csdata,"",@progbits
; Kernel info:
; codeLenInByte = 1908
; NumSgprs: 18
; NumVgprs: 24
; ScratchSize: 0
; MemoryBound: 0
; FloatMode: 240
; IeeeMode: 1
; LDSByteSize: 4096 bytes/workgroup (compile time only)
; SGPRBlocks: 2
; VGPRBlocks: 2
; NumSGPRsForWavesPerEU: 18
; NumVGPRsForWavesPerEU: 24
; Occupancy: 16
; WaveLimiterHint : 0
; COMPUTE_PGM_RSRC2:SCRATCH_EN: 0
; COMPUTE_PGM_RSRC2:USER_SGPR: 15
; COMPUTE_PGM_RSRC2:TRAP_HANDLER: 0
; COMPUTE_PGM_RSRC2:TGID_X_EN: 1
; COMPUTE_PGM_RSRC2:TGID_Y_EN: 0
; COMPUTE_PGM_RSRC2:TGID_Z_EN: 0
; COMPUTE_PGM_RSRC2:TIDIG_COMP_CNT: 2
	.section	.text._ZN4vllm3moe17topkGatingSoftmaxILi4ELi32ELi4ELi16ELi32EjEEvPKfPKbPfiPT4_Piiii,"axG",@progbits,_ZN4vllm3moe17topkGatingSoftmaxILi4ELi32ELi4ELi16ELi32EjEEvPKfPKbPfiPT4_Piiii,comdat
	.protected	_ZN4vllm3moe17topkGatingSoftmaxILi4ELi32ELi4ELi16ELi32EjEEvPKfPKbPfiPT4_Piiii ; -- Begin function _ZN4vllm3moe17topkGatingSoftmaxILi4ELi32ELi4ELi16ELi32EjEEvPKfPKbPfiPT4_Piiii
	.globl	_ZN4vllm3moe17topkGatingSoftmaxILi4ELi32ELi4ELi16ELi32EjEEvPKfPKbPfiPT4_Piiii
	.p2align	8
	.type	_ZN4vllm3moe17topkGatingSoftmaxILi4ELi32ELi4ELi16ELi32EjEEvPKfPKbPfiPT4_Piiii,@function
_ZN4vllm3moe17topkGatingSoftmaxILi4ELi32ELi4ELi16ELi32EjEEvPKfPKbPfiPT4_Piiii: ; @_ZN4vllm3moe17topkGatingSoftmaxILi4ELi32ELi4ELi16ELi32EjEEvPKfPKbPfiPT4_Piiii
; %bb.0:
	s_load_b32 s14, s[2:3], 0x18
	v_bfe_u32 v7, v0, 10, 10
	v_and_b32_e32 v6, 0x3ff, v0
	s_lshl_b32 s4, s15, 4
	s_delay_alu instid0(VALU_DEP_2) | instskip(NEXT) | instid1(VALU_DEP_2)
	v_lshlrev_b32_e32 v1, 2, v7
	v_lshrrev_b32_e32 v2, 3, v6
	s_delay_alu instid0(VALU_DEP_1) | instskip(SKIP_2) | instid1(VALU_DEP_1)
	v_add3_u32 v1, s4, v1, v2
	s_mov_b32 s4, exec_lo
	s_waitcnt lgkmcnt(0)
	v_cmpx_gt_i32_e64 s14, v1
	s_cbranch_execz .LBB35_22
; %bb.1:
	s_clause 0x1
	s_load_b128 s[4:7], s[2:3], 0x0
	s_load_b64 s[12:13], s[2:3], 0x10
	s_mov_b32 s15, -1
	s_waitcnt lgkmcnt(0)
	s_cmp_eq_u64 s[6:7], 0
	s_cbranch_scc1 .LBB35_3
; %bb.2:
	v_ashrrev_i32_e32 v3, 31, v1
	v_add_co_u32 v2, vcc_lo, s6, v1
	s_delay_alu instid0(VALU_DEP_2) | instskip(SKIP_3) | instid1(VALU_DEP_1)
	v_add_co_ci_u32_e32 v3, vcc_lo, s7, v3, vcc_lo
	global_load_u8 v2, v[2:3], off
	s_waitcnt vmcnt(0)
	v_and_b32_e32 v2, 1, v2
	v_cmp_eq_u32_e32 vcc_lo, 1, v2
	s_xor_b32 s6, vcc_lo, -1
	s_delay_alu instid0(SALU_CYCLE_1)
	s_or_not1_b32 s15, s6, exec_lo
.LBB35_3:
	v_lshlrev_b32_e32 v3, 5, v1
	v_and_b32_e32 v2, 7, v6
	s_load_b64 s[0:1], s[0:1], 0x4
	v_bfe_u32 v0, v0, 20, 10
	s_delay_alu instid0(VALU_DEP_3) | instskip(NEXT) | instid1(VALU_DEP_3)
	v_ashrrev_i32_e32 v4, 31, v3
	v_lshlrev_b32_e32 v5, 4, v2
	s_delay_alu instid0(VALU_DEP_2) | instskip(NEXT) | instid1(VALU_DEP_1)
	v_lshlrev_b64 v[3:4], 2, v[3:4]
	v_add_co_u32 v3, vcc_lo, s4, v3
	s_delay_alu instid0(VALU_DEP_2) | instskip(SKIP_1) | instid1(VALU_DEP_2)
	v_add_co_ci_u32_e32 v4, vcc_lo, s5, v4, vcc_lo
	s_load_b128 s[4:7], s[2:3], 0x30
	v_add_co_u32 v3, vcc_lo, v3, v5
	s_delay_alu instid0(VALU_DEP_2)
	v_add_co_ci_u32_e32 v4, vcc_lo, 0, v4, vcc_lo
	v_mbcnt_lo_u32_b32 v5, -1, 0
	s_waitcnt lgkmcnt(0)
	v_mul_u32_u24_e32 v7, s1, v7
	s_lshr_b32 s0, s0, 16
	global_load_b128 v[8:11], v[3:4], off
	s_mul_i32 s0, s0, s1
	v_xor_b32_e32 v14, 2, v5
	v_and_b32_e32 v3, 24, v5
	v_xor_b32_e32 v4, 4, v5
	v_mad_u32_u24 v6, s0, v6, v7
	s_mov_b32 s7, 0
	s_delay_alu instid0(VALU_DEP_3) | instskip(NEXT) | instid1(VALU_DEP_2)
	v_add_nc_u32_e32 v12, 8, v3
	v_add_lshl_u32 v0, v6, v0, 4
	s_cmp_lt_i32 s4, 1
	s_waitcnt vmcnt(0)
	v_max_f32_e32 v13, v8, v8
	v_cmp_lt_i32_e32 vcc_lo, v4, v12
	v_max_f32_e32 v3, v9, v9
	v_cndmask_b32_e32 v4, v5, v4, vcc_lo
	v_cmp_lt_i32_e32 vcc_lo, v14, v12
	v_cndmask_b32_e32 v14, v5, v14, vcc_lo
	s_delay_alu instid0(VALU_DEP_4) | instskip(NEXT) | instid1(VALU_DEP_4)
	v_max_f32_e32 v13, v13, v3
	v_lshlrev_b32_e32 v3, 2, v4
	s_delay_alu instid0(VALU_DEP_2) | instskip(SKIP_3) | instid1(VALU_DEP_1)
	v_max3_f32 v13, v13, v10, v11
	ds_bpermute_b32 v4, v3, v13
	s_waitcnt lgkmcnt(0)
	v_dual_max_f32 v15, v4, v4 :: v_dual_lshlrev_b32 v4, 2, v14
	v_max_f32_e32 v13, v13, v15
	v_xor_b32_e32 v15, 1, v5
	ds_bpermute_b32 v14, v4, v13
	v_cmp_lt_i32_e32 vcc_lo, v15, v12
	s_waitcnt lgkmcnt(0)
	v_max_f32_e32 v12, v14, v14
	s_delay_alu instid0(VALU_DEP_1) | instskip(SKIP_1) | instid1(VALU_DEP_1)
	v_max_f32_e32 v12, v13, v12
	v_cndmask_b32_e32 v5, v5, v15, vcc_lo
	v_lshlrev_b32_e32 v5, 2, v5
	ds_bpermute_b32 v13, v5, v12
	s_waitcnt lgkmcnt(0)
	v_max_f32_e32 v13, v13, v13
	s_delay_alu instid0(VALU_DEP_1) | instskip(NEXT) | instid1(VALU_DEP_1)
	v_max_f32_e32 v12, v12, v13
	v_sub_f32_e32 v8, v8, v12
	v_sub_f32_e32 v9, v9, v12
	;; [unrolled: 1-line block ×4, first 2 shown]
	s_delay_alu instid0(VALU_DEP_4) | instskip(SKIP_1) | instid1(VALU_DEP_4)
	v_mul_f32_e32 v12, 0x3fb8aa3b, v8
	v_cmp_ngt_f32_e32 vcc_lo, 0xc2ce8ed0, v8
	v_mul_f32_e32 v14, 0x3fb8aa3b, v10
	s_delay_alu instid0(VALU_DEP_3) | instskip(SKIP_1) | instid1(VALU_DEP_3)
	v_fma_f32 v16, 0x3fb8aa3b, v8, -v12
	v_rndne_f32_e32 v17, v12
	v_rndne_f32_e32 v21, v14
	v_fma_f32 v20, 0x3fb8aa3b, v10, -v14
	s_delay_alu instid0(VALU_DEP_4) | instskip(NEXT) | instid1(VALU_DEP_4)
	v_fmac_f32_e32 v16, 0x32a5705f, v8
	v_sub_f32_e32 v12, v12, v17
	v_mul_f32_e32 v13, 0x3fb8aa3b, v9
	v_sub_f32_e32 v14, v14, v21
	s_delay_alu instid0(VALU_DEP_3) | instskip(NEXT) | instid1(VALU_DEP_3)
	v_add_f32_e32 v12, v12, v16
	v_fma_f32 v18, 0x3fb8aa3b, v9, -v13
	v_rndne_f32_e32 v19, v13
	v_cvt_i32_f32_e32 v16, v17
	s_delay_alu instid0(VALU_DEP_4) | instskip(NEXT) | instid1(VALU_DEP_3)
	v_exp_f32_e32 v12, v12
	v_fmac_f32_e32 v18, 0x32a5705f, v9
	v_mul_f32_e32 v15, 0x3fb8aa3b, v11
	v_sub_f32_e32 v13, v13, v19
	v_cvt_i32_f32_e32 v17, v19
	s_delay_alu instid0(VALU_DEP_3) | instskip(SKIP_3) | instid1(TRANS32_DEP_1)
	v_fma_f32 v22, 0x3fb8aa3b, v11, -v15
	v_rndne_f32_e32 v23, v15
	v_fmac_f32_e32 v20, 0x32a5705f, v10
	v_add_f32_e32 v13, v13, v18
	v_ldexp_f32 v12, v12, v16
	v_fmac_f32_e32 v22, 0x32a5705f, v11
	s_delay_alu instid0(VALU_DEP_4) | instskip(NEXT) | instid1(VALU_DEP_4)
	v_dual_sub_f32 v15, v15, v23 :: v_dual_add_f32 v14, v14, v20
	v_exp_f32_e32 v13, v13
	v_cvt_i32_f32_e32 v18, v21
	v_cvt_i32_f32_e32 v19, v23
	s_delay_alu instid0(VALU_DEP_3) | instskip(SKIP_1) | instid1(VALU_DEP_1)
	v_add_f32_e32 v15, v15, v22
	v_exp_f32_e32 v14, v14
	v_exp_f32_e32 v15, v15
	s_delay_alu instid0(TRANS32_DEP_3)
	v_ldexp_f32 v13, v13, v17
	v_cndmask_b32_e32 v12, 0, v12, vcc_lo
	v_cmp_ngt_f32_e32 vcc_lo, 0xc2ce8ed0, v9
	s_waitcnt_depctr 0xfff
	v_ldexp_f32 v14, v14, v18
	v_cndmask_b32_e32 v13, 0, v13, vcc_lo
	v_cmp_ngt_f32_e32 vcc_lo, 0xc2ce8ed0, v10
	v_ldexp_f32 v15, v15, v19
	s_delay_alu instid0(VALU_DEP_4)
	v_cndmask_b32_e32 v14, 0, v14, vcc_lo
	v_cmp_nlt_f32_e32 vcc_lo, 0x42b17218, v8
	v_cndmask_b32_e32 v8, 0x7f800000, v12, vcc_lo
	v_cmp_nlt_f32_e32 vcc_lo, 0x42b17218, v9
	v_cndmask_b32_e32 v9, 0x7f800000, v13, vcc_lo
	v_cmp_ngt_f32_e32 vcc_lo, 0xc2ce8ed0, v11
	s_delay_alu instid0(VALU_DEP_2) | instskip(SKIP_3) | instid1(VALU_DEP_2)
	v_dual_add_f32 v13, v8, v9 :: v_dual_cndmask_b32 v12, 0, v15
	v_cmp_nlt_f32_e32 vcc_lo, 0x42b17218, v10
	v_cndmask_b32_e32 v10, 0x7f800000, v14, vcc_lo
	v_cmp_nlt_f32_e32 vcc_lo, 0x42b17218, v11
	v_dual_cndmask_b32 v11, 0x7f800000, v12 :: v_dual_add_f32 v12, v13, v10
	s_delay_alu instid0(VALU_DEP_1)
	v_add_f32_e32 v12, v12, v11
	ds_bpermute_b32 v13, v3, v12
	s_waitcnt lgkmcnt(0)
	v_add_f32_e32 v12, v12, v13
	ds_bpermute_b32 v13, v4, v12
	s_waitcnt lgkmcnt(0)
	;; [unrolled: 3-line block ×3, first 2 shown]
	v_add_f32_e32 v12, v12, v13
	s_delay_alu instid0(VALU_DEP_1) | instskip(SKIP_1) | instid1(VALU_DEP_2)
	v_div_scale_f32 v13, null, v12, v12, 1.0
	v_div_scale_f32 v16, vcc_lo, 1.0, v12, 1.0
	v_rcp_f32_e32 v14, v13
	s_waitcnt_depctr 0xfff
	v_fma_f32 v15, -v13, v14, 1.0
	s_delay_alu instid0(VALU_DEP_1) | instskip(NEXT) | instid1(VALU_DEP_1)
	v_fmac_f32_e32 v14, v15, v14
	v_mul_f32_e32 v15, v16, v14
	s_delay_alu instid0(VALU_DEP_1) | instskip(NEXT) | instid1(VALU_DEP_1)
	v_fma_f32 v17, -v13, v15, v16
	v_fmac_f32_e32 v15, v17, v14
	s_delay_alu instid0(VALU_DEP_1) | instskip(NEXT) | instid1(VALU_DEP_1)
	v_fma_f32 v13, -v13, v15, v16
	v_div_fmas_f32 v13, v13, v14, v15
	s_delay_alu instid0(VALU_DEP_1) | instskip(NEXT) | instid1(VALU_DEP_1)
	v_div_fixup_f32 v12, v13, v12, 1.0
	v_mul_f32_e32 v6, v12, v8
	v_mul_f32_e32 v7, v12, v9
	;; [unrolled: 1-line block ×4, first 2 shown]
	ds_store_b128 v0, v[6:9]
	s_cbranch_scc1 .LBB35_22
; %bb.4:
	s_load_b128 s[8:11], s[2:3], 0x20
	v_mul_lo_u32 v6, v1, s4
	v_dual_mov_b32 v8, 0xc61c4000 :: v_dual_lshlrev_b32 v7, 2, v2
	v_cmp_eq_u32_e32 vcc_lo, 0, v2
	s_branch .LBB35_6
.LBB35_5:                               ;   in Loop: Header=BB35_6 Depth=1
	s_or_b32 exec_lo, exec_lo, s0
	v_add_nc_u32_e32 v1, s14, v1
	s_cmp_lg_u32 s4, s7
	s_cbranch_scc0 .LBB35_22
.LBB35_6:                               ; =>This Inner Loop Header: Depth=1
	ds_load_b128 v[9:12], v0
	s_mov_b32 s3, exec_lo
	s_waitcnt lgkmcnt(0)
	v_cmp_gt_f32_e64 s0, v10, v9
	s_delay_alu instid0(VALU_DEP_1) | instskip(SKIP_1) | instid1(VALU_DEP_2)
	v_cndmask_b32_e64 v9, v9, v10, s0
	v_cndmask_b32_e64 v10, 0, 1, s0
	v_cmp_gt_f32_e64 s0, v11, v9
	s_delay_alu instid0(VALU_DEP_1) | instskip(NEXT) | instid1(VALU_DEP_3)
	v_cndmask_b32_e64 v9, v9, v11, s0
	v_cndmask_b32_e64 v11, v10, 2, s0
	s_delay_alu instid0(VALU_DEP_2) | instskip(NEXT) | instid1(VALU_DEP_1)
	v_cmp_gt_f32_e64 s0, v12, v9
	v_cndmask_b32_e64 v10, v9, v12, s0
	s_delay_alu instid0(VALU_DEP_3)
	v_cndmask_b32_e64 v9, v11, 3, s0
	ds_bpermute_b32 v11, v3, v10
	v_or_b32_e32 v9, v7, v9
	ds_bpermute_b32 v12, v3, v9
	s_waitcnt lgkmcnt(1)
	v_cmp_lt_f32_e64 s2, v10, v11
	v_cmpx_nlt_f32_e32 v10, v11
	s_cbranch_execz .LBB35_8
; %bb.7:                                ;   in Loop: Header=BB35_6 Depth=1
	v_cmp_eq_f32_e64 s0, v10, v11
	s_waitcnt lgkmcnt(0)
	v_cmp_lt_i32_e64 s1, v12, v9
	s_delay_alu instid0(VALU_DEP_1) | instskip(SKIP_2) | instid1(SALU_CYCLE_1)
	s_and_b32 s0, s0, s1
	s_and_not1_b32 s1, s2, exec_lo
	s_and_b32 s0, s0, exec_lo
	s_or_b32 s2, s1, s0
.LBB35_8:                               ;   in Loop: Header=BB35_6 Depth=1
	s_or_b32 exec_lo, exec_lo, s3
	s_delay_alu instid0(VALU_DEP_2)
	s_and_saveexec_b32 s0, s2
	s_cbranch_execz .LBB35_10
; %bb.9:                                ;   in Loop: Header=BB35_6 Depth=1
	s_waitcnt lgkmcnt(0)
	v_dual_mov_b32 v10, v11 :: v_dual_mov_b32 v9, v12
.LBB35_10:                              ;   in Loop: Header=BB35_6 Depth=1
	s_or_b32 exec_lo, exec_lo, s0
	s_waitcnt lgkmcnt(0)
	ds_bpermute_b32 v12, v4, v10
	ds_bpermute_b32 v11, v4, v9
	s_mov_b32 s3, exec_lo
	s_waitcnt lgkmcnt(1)
	v_cmp_lt_f32_e64 s2, v10, v12
	v_cmpx_nlt_f32_e32 v10, v12
	s_cbranch_execz .LBB35_12
; %bb.11:                               ;   in Loop: Header=BB35_6 Depth=1
	v_cmp_eq_f32_e64 s0, v10, v12
	s_waitcnt lgkmcnt(0)
	v_cmp_lt_i32_e64 s1, v11, v9
	s_delay_alu instid0(VALU_DEP_1) | instskip(SKIP_2) | instid1(SALU_CYCLE_1)
	s_and_b32 s0, s0, s1
	s_and_not1_b32 s1, s2, exec_lo
	s_and_b32 s0, s0, exec_lo
	s_or_b32 s2, s1, s0
.LBB35_12:                              ;   in Loop: Header=BB35_6 Depth=1
	s_or_b32 exec_lo, exec_lo, s3
	s_delay_alu instid0(VALU_DEP_2)
	s_and_saveexec_b32 s0, s2
	s_cbranch_execz .LBB35_14
; %bb.13:                               ;   in Loop: Header=BB35_6 Depth=1
	s_waitcnt lgkmcnt(0)
	v_dual_mov_b32 v10, v12 :: v_dual_mov_b32 v9, v11
.LBB35_14:                              ;   in Loop: Header=BB35_6 Depth=1
	s_or_b32 exec_lo, exec_lo, s0
	s_waitcnt lgkmcnt(0)
	ds_bpermute_b32 v11, v5, v10
	ds_bpermute_b32 v12, v5, v9
	s_mov_b32 s3, exec_lo
	s_waitcnt lgkmcnt(1)
	v_cmp_lt_f32_e64 s2, v10, v11
	v_cmpx_nlt_f32_e32 v10, v11
	s_cbranch_execnz .LBB35_20
; %bb.15:                               ;   in Loop: Header=BB35_6 Depth=1
	s_or_b32 exec_lo, exec_lo, s3
	s_delay_alu instid0(VALU_DEP_2)
	s_and_saveexec_b32 s0, s2
	s_cbranch_execnz .LBB35_21
.LBB35_16:                              ;   in Loop: Header=BB35_6 Depth=1
	s_or_b32 exec_lo, exec_lo, s0
	s_and_saveexec_b32 s2, vcc_lo
	s_cbranch_execz .LBB35_18
.LBB35_17:                              ;   in Loop: Header=BB35_6 Depth=1
	v_add_nc_u32_e32 v11, s7, v6
	v_cmp_le_i32_e64 s0, s5, v9
	v_cmp_gt_i32_e64 s1, s6, v9
	v_subrev_nc_u32_e32 v13, s5, v9
	s_waitcnt lgkmcnt(0)
	v_ashrrev_i32_e32 v12, 31, v11
	s_delay_alu instid0(VALU_DEP_3) | instskip(NEXT) | instid1(SALU_CYCLE_1)
	s_and_b32 s0, s0, s1
	s_and_b32 s0, s15, s0
	s_delay_alu instid0(VALU_DEP_1) | instskip(SKIP_1) | instid1(VALU_DEP_2)
	v_lshlrev_b64 v[11:12], 2, v[11:12]
	v_cndmask_b32_e64 v17, 32, v13, s0
	v_add_co_u32 v13, s0, s12, v11
	s_delay_alu instid0(VALU_DEP_1) | instskip(SKIP_1) | instid1(VALU_DEP_1)
	v_add_co_ci_u32_e64 v14, s0, s13, v12, s0
	v_add_co_u32 v15, s0, s8, v11
	v_add_co_ci_u32_e64 v16, s0, s9, v12, s0
	v_add_co_u32 v11, s0, s10, v11
	s_delay_alu instid0(VALU_DEP_1)
	v_add_co_ci_u32_e64 v12, s0, s11, v12, s0
	global_store_b32 v[13:14], v10, off
	global_store_b32 v[15:16], v17, off
	;; [unrolled: 1-line block ×3, first 2 shown]
.LBB35_18:                              ;   in Loop: Header=BB35_6 Depth=1
	s_or_b32 exec_lo, exec_lo, s2
	v_ashrrev_i32_e32 v11, 31, v9
	s_add_i32 s7, s7, 1
	s_delay_alu instid0(SALU_CYCLE_1) | instskip(SKIP_1) | instid1(VALU_DEP_1)
	s_cmp_lt_i32 s7, s4
	s_cselect_b32 s1, -1, 0
	v_lshrrev_b32_e32 v10, 30, v11
	s_delay_alu instid0(VALU_DEP_1) | instskip(NEXT) | instid1(VALU_DEP_1)
	v_add_nc_u32_e32 v10, v9, v10
	v_ashrrev_i32_e32 v10, 2, v10
	s_waitcnt lgkmcnt(0)
	s_delay_alu instid0(VALU_DEP_1) | instskip(NEXT) | instid1(VALU_DEP_1)
	v_lshrrev_b32_e32 v12, 29, v10
	v_add_nc_u32_e32 v12, v10, v12
	s_delay_alu instid0(VALU_DEP_1) | instskip(NEXT) | instid1(VALU_DEP_1)
	v_and_b32_e32 v12, -8, v12
	v_sub_nc_u32_e32 v12, v10, v12
	s_delay_alu instid0(VALU_DEP_1) | instskip(NEXT) | instid1(VALU_DEP_1)
	v_cmp_eq_u32_e64 s0, v2, v12
	s_and_b32 s1, s1, s0
	s_delay_alu instid0(SALU_CYCLE_1)
	s_and_saveexec_b32 s0, s1
	s_cbranch_execz .LBB35_5
; %bb.19:                               ;   in Loop: Header=BB35_6 Depth=1
	v_lshrrev_b32_e32 v11, 27, v11
	v_lshlrev_b32_e32 v10, 2, v10
	s_delay_alu instid0(VALU_DEP_2) | instskip(NEXT) | instid1(VALU_DEP_2)
	v_add_nc_u32_e32 v11, v9, v11
	v_sub_nc_u32_e32 v9, v9, v10
	s_delay_alu instid0(VALU_DEP_2) | instskip(NEXT) | instid1(VALU_DEP_1)
	v_ashrrev_i32_e32 v11, 5, v11
	v_lshl_add_u32 v9, v11, 2, v9
	s_delay_alu instid0(VALU_DEP_1)
	v_lshl_add_u32 v9, v9, 2, v0
	ds_store_b32 v9, v8
	s_branch .LBB35_5
.LBB35_20:                              ;   in Loop: Header=BB35_6 Depth=1
	v_cmp_eq_f32_e64 s0, v10, v11
	s_waitcnt lgkmcnt(0)
	v_cmp_lt_i32_e64 s1, v12, v9
	s_delay_alu instid0(VALU_DEP_1) | instskip(SKIP_2) | instid1(SALU_CYCLE_1)
	s_and_b32 s0, s0, s1
	s_and_not1_b32 s1, s2, exec_lo
	s_and_b32 s0, s0, exec_lo
	s_or_b32 s2, s1, s0
	s_or_b32 exec_lo, exec_lo, s3
	s_and_saveexec_b32 s0, s2
	s_cbranch_execz .LBB35_16
.LBB35_21:                              ;   in Loop: Header=BB35_6 Depth=1
	s_waitcnt lgkmcnt(0)
	v_dual_mov_b32 v10, v11 :: v_dual_mov_b32 v9, v12
	s_or_b32 exec_lo, exec_lo, s0
	s_and_saveexec_b32 s2, vcc_lo
	s_cbranch_execnz .LBB35_17
	s_branch .LBB35_18
.LBB35_22:
	s_nop 0
	s_sendmsg sendmsg(MSG_DEALLOC_VGPRS)
	s_endpgm
	.section	.rodata,"a",@progbits
	.p2align	6, 0x0
	.amdhsa_kernel _ZN4vllm3moe17topkGatingSoftmaxILi4ELi32ELi4ELi16ELi32EjEEvPKfPKbPfiPT4_Piiii
		.amdhsa_group_segment_fixed_size 2048
		.amdhsa_private_segment_fixed_size 0
		.amdhsa_kernarg_size 60
		.amdhsa_user_sgpr_count 15
		.amdhsa_user_sgpr_dispatch_ptr 1
		.amdhsa_user_sgpr_queue_ptr 0
		.amdhsa_user_sgpr_kernarg_segment_ptr 1
		.amdhsa_user_sgpr_dispatch_id 0
		.amdhsa_user_sgpr_private_segment_size 0
		.amdhsa_wavefront_size32 1
		.amdhsa_uses_dynamic_stack 0
		.amdhsa_enable_private_segment 0
		.amdhsa_system_sgpr_workgroup_id_x 1
		.amdhsa_system_sgpr_workgroup_id_y 0
		.amdhsa_system_sgpr_workgroup_id_z 0
		.amdhsa_system_sgpr_workgroup_info 0
		.amdhsa_system_vgpr_workitem_id 2
		.amdhsa_next_free_vgpr 24
		.amdhsa_next_free_sgpr 16
		.amdhsa_reserve_vcc 1
		.amdhsa_float_round_mode_32 0
		.amdhsa_float_round_mode_16_64 0
		.amdhsa_float_denorm_mode_32 3
		.amdhsa_float_denorm_mode_16_64 3
		.amdhsa_dx10_clamp 1
		.amdhsa_ieee_mode 1
		.amdhsa_fp16_overflow 0
		.amdhsa_workgroup_processor_mode 1
		.amdhsa_memory_ordered 1
		.amdhsa_forward_progress 0
		.amdhsa_shared_vgpr_count 0
		.amdhsa_exception_fp_ieee_invalid_op 0
		.amdhsa_exception_fp_denorm_src 0
		.amdhsa_exception_fp_ieee_div_zero 0
		.amdhsa_exception_fp_ieee_overflow 0
		.amdhsa_exception_fp_ieee_underflow 0
		.amdhsa_exception_fp_ieee_inexact 0
		.amdhsa_exception_int_div_zero 0
	.end_amdhsa_kernel
	.section	.text._ZN4vllm3moe17topkGatingSoftmaxILi4ELi32ELi4ELi16ELi32EjEEvPKfPKbPfiPT4_Piiii,"axG",@progbits,_ZN4vllm3moe17topkGatingSoftmaxILi4ELi32ELi4ELi16ELi32EjEEvPKfPKbPfiPT4_Piiii,comdat
.Lfunc_end35:
	.size	_ZN4vllm3moe17topkGatingSoftmaxILi4ELi32ELi4ELi16ELi32EjEEvPKfPKbPfiPT4_Piiii, .Lfunc_end35-_ZN4vllm3moe17topkGatingSoftmaxILi4ELi32ELi4ELi16ELi32EjEEvPKfPKbPfiPT4_Piiii
                                        ; -- End function
	.section	.AMDGPU.csdata,"",@progbits
; Kernel info:
; codeLenInByte = 1900
; NumSgprs: 18
; NumVgprs: 24
; ScratchSize: 0
; MemoryBound: 0
; FloatMode: 240
; IeeeMode: 1
; LDSByteSize: 2048 bytes/workgroup (compile time only)
; SGPRBlocks: 2
; VGPRBlocks: 2
; NumSGPRsForWavesPerEU: 18
; NumVGPRsForWavesPerEU: 24
; Occupancy: 16
; WaveLimiterHint : 0
; COMPUTE_PGM_RSRC2:SCRATCH_EN: 0
; COMPUTE_PGM_RSRC2:USER_SGPR: 15
; COMPUTE_PGM_RSRC2:TRAP_HANDLER: 0
; COMPUTE_PGM_RSRC2:TGID_X_EN: 1
; COMPUTE_PGM_RSRC2:TGID_Y_EN: 0
; COMPUTE_PGM_RSRC2:TGID_Z_EN: 0
; COMPUTE_PGM_RSRC2:TIDIG_COMP_CNT: 2
	.section	.text._ZN4vllm3moe17topkGatingSoftmaxILi4ELi64ELi4ELi16ELi64EjEEvPKfPKbPfiPT4_Piiii,"axG",@progbits,_ZN4vllm3moe17topkGatingSoftmaxILi4ELi64ELi4ELi16ELi64EjEEvPKfPKbPfiPT4_Piiii,comdat
	.protected	_ZN4vllm3moe17topkGatingSoftmaxILi4ELi64ELi4ELi16ELi64EjEEvPKfPKbPfiPT4_Piiii ; -- Begin function _ZN4vllm3moe17topkGatingSoftmaxILi4ELi64ELi4ELi16ELi64EjEEvPKfPKbPfiPT4_Piiii
	.globl	_ZN4vllm3moe17topkGatingSoftmaxILi4ELi64ELi4ELi16ELi64EjEEvPKfPKbPfiPT4_Piiii
	.p2align	8
	.type	_ZN4vllm3moe17topkGatingSoftmaxILi4ELi64ELi4ELi16ELi64EjEEvPKfPKbPfiPT4_Piiii,@function
_ZN4vllm3moe17topkGatingSoftmaxILi4ELi64ELi4ELi16ELi64EjEEvPKfPKbPfiPT4_Piiii: ; @_ZN4vllm3moe17topkGatingSoftmaxILi4ELi64ELi4ELi16ELi64EjEEvPKfPKbPfiPT4_Piiii
; %bb.0:
	s_load_b32 s14, s[2:3], 0x18
	v_bfe_u32 v7, v0, 10, 10
	v_and_b32_e32 v8, 0x3ff, v0
	s_lshl_b32 s4, s15, 4
	s_delay_alu instid0(VALU_DEP_2) | instskip(NEXT) | instid1(VALU_DEP_2)
	v_lshlrev_b32_e32 v1, 2, v7
	v_lshrrev_b32_e32 v2, 4, v8
	s_delay_alu instid0(VALU_DEP_1) | instskip(SKIP_2) | instid1(VALU_DEP_1)
	v_add3_u32 v1, s4, v1, v2
	s_mov_b32 s4, exec_lo
	s_waitcnt lgkmcnt(0)
	v_cmpx_gt_i32_e64 s14, v1
	s_cbranch_execz .LBB36_26
; %bb.1:
	s_clause 0x1
	s_load_b128 s[4:7], s[2:3], 0x0
	s_load_b64 s[12:13], s[2:3], 0x10
	s_mov_b32 s15, -1
	s_waitcnt lgkmcnt(0)
	s_cmp_eq_u64 s[6:7], 0
	s_cbranch_scc1 .LBB36_3
; %bb.2:
	v_ashrrev_i32_e32 v3, 31, v1
	v_add_co_u32 v2, vcc_lo, s6, v1
	s_delay_alu instid0(VALU_DEP_2) | instskip(SKIP_3) | instid1(VALU_DEP_1)
	v_add_co_ci_u32_e32 v3, vcc_lo, s7, v3, vcc_lo
	global_load_u8 v2, v[2:3], off
	s_waitcnt vmcnt(0)
	v_and_b32_e32 v2, 1, v2
	v_cmp_eq_u32_e32 vcc_lo, 1, v2
	s_xor_b32 s6, vcc_lo, -1
	s_delay_alu instid0(SALU_CYCLE_1)
	s_or_not1_b32 s15, s6, exec_lo
.LBB36_3:
	v_mbcnt_lo_u32_b32 v6, -1, 0
	v_lshlrev_b32_e32 v3, 6, v1
	v_and_b32_e32 v2, 15, v8
	s_load_b64 s[0:1], s[0:1], 0x4
	v_bfe_u32 v0, v0, 20, 10
	v_xor_b32_e32 v14, 4, v6
	v_ashrrev_i32_e32 v4, 31, v3
	v_lshlrev_b32_e32 v5, 4, v2
	s_delay_alu instid0(VALU_DEP_2) | instskip(NEXT) | instid1(VALU_DEP_1)
	v_lshlrev_b64 v[3:4], 2, v[3:4]
	v_add_co_u32 v3, vcc_lo, s4, v3
	s_delay_alu instid0(VALU_DEP_2) | instskip(SKIP_1) | instid1(VALU_DEP_2)
	v_add_co_ci_u32_e32 v4, vcc_lo, s5, v4, vcc_lo
	s_load_b128 s[4:7], s[2:3], 0x30
	v_add_co_u32 v3, vcc_lo, v3, v5
	s_delay_alu instid0(VALU_DEP_2)
	v_add_co_ci_u32_e32 v4, vcc_lo, 0, v4, vcc_lo
	s_waitcnt lgkmcnt(0)
	s_lshr_b32 s0, s0, 16
	s_mov_b32 s7, 0
	s_mul_i32 s0, s0, s1
	global_load_b128 v[9:12], v[3:4], off
	v_and_b32_e32 v3, 16, v6
	v_xor_b32_e32 v4, 8, v6
	v_mul_lo_u32 v8, s0, v8
	s_delay_alu instid0(VALU_DEP_3) | instskip(NEXT) | instid1(VALU_DEP_2)
	v_add_nc_u32_e32 v13, 16, v3
	v_mad_u32_u24 v7, v7, s1, v8
	s_delay_alu instid0(VALU_DEP_2) | instskip(SKIP_1) | instid1(VALU_DEP_2)
	v_cmp_lt_i32_e32 vcc_lo, v4, v13
	s_cmp_lt_i32 s4, 1
	v_add_lshl_u32 v0, v7, v0, 4
	v_cndmask_b32_e32 v4, v6, v4, vcc_lo
	v_cmp_lt_i32_e32 vcc_lo, v14, v13
	v_cndmask_b32_e32 v14, v6, v14, vcc_lo
	s_waitcnt vmcnt(0)
	v_max_f32_e32 v3, v10, v10
	v_max_f32_e32 v5, v9, v9
	s_delay_alu instid0(VALU_DEP_1) | instskip(SKIP_1) | instid1(VALU_DEP_2)
	v_max_f32_e32 v5, v5, v3
	v_lshlrev_b32_e32 v3, 2, v4
	v_max3_f32 v5, v5, v11, v12
	ds_bpermute_b32 v4, v3, v5
	s_waitcnt lgkmcnt(0)
	v_dual_max_f32 v15, v4, v4 :: v_dual_lshlrev_b32 v4, 2, v14
	s_delay_alu instid0(VALU_DEP_1)
	v_max_f32_e32 v14, v5, v15
	v_xor_b32_e32 v15, 2, v6
	ds_bpermute_b32 v5, v4, v14
	v_cmp_lt_i32_e32 vcc_lo, v15, v13
	s_waitcnt lgkmcnt(0)
	v_dual_cndmask_b32 v15, v6, v15 :: v_dual_max_f32 v16, v5, v5
	s_delay_alu instid0(VALU_DEP_1)
	v_dual_max_f32 v14, v14, v16 :: v_dual_lshlrev_b32 v5, 2, v15
	v_xor_b32_e32 v16, 1, v6
	ds_bpermute_b32 v15, v5, v14
	v_cmp_lt_i32_e32 vcc_lo, v16, v13
	v_cndmask_b32_e32 v6, v6, v16, vcc_lo
	s_waitcnt lgkmcnt(0)
	s_delay_alu instid0(VALU_DEP_1) | instskip(NEXT) | instid1(VALU_DEP_1)
	v_dual_max_f32 v13, v15, v15 :: v_dual_lshlrev_b32 v6, 2, v6
	v_max_f32_e32 v13, v14, v13
	ds_bpermute_b32 v14, v6, v13
	s_waitcnt lgkmcnt(0)
	v_max_f32_e32 v14, v14, v14
	s_delay_alu instid0(VALU_DEP_1) | instskip(NEXT) | instid1(VALU_DEP_1)
	v_max_f32_e32 v13, v13, v14
	v_sub_f32_e32 v10, v10, v13
	s_delay_alu instid0(VALU_DEP_1) | instskip(NEXT) | instid1(VALU_DEP_1)
	v_mul_f32_e32 v14, 0x3fb8aa3b, v10
	v_rndne_f32_e32 v20, v14
	v_fma_f32 v19, 0x3fb8aa3b, v10, -v14
	s_delay_alu instid0(VALU_DEP_2) | instskip(SKIP_1) | instid1(VALU_DEP_1)
	v_sub_f32_e32 v14, v14, v20
	v_sub_f32_e32 v12, v12, v13
	v_dual_sub_f32 v11, v11, v13 :: v_dual_mul_f32 v16, 0x3fb8aa3b, v12
	s_delay_alu instid0(VALU_DEP_1) | instskip(SKIP_1) | instid1(VALU_DEP_3)
	v_mul_f32_e32 v15, 0x3fb8aa3b, v11
	v_fmac_f32_e32 v19, 0x32a5705f, v10
	v_fma_f32 v23, 0x3fb8aa3b, v12, -v16
	v_rndne_f32_e32 v24, v16
	v_sub_f32_e32 v9, v9, v13
	v_rndne_f32_e32 v22, v15
	s_delay_alu instid0(VALU_DEP_4) | instskip(NEXT) | instid1(VALU_DEP_3)
	v_dual_add_f32 v14, v14, v19 :: v_dual_fmac_f32 v23, 0x32a5705f, v12
	v_dual_sub_f32 v16, v16, v24 :: v_dual_mul_f32 v13, 0x3fb8aa3b, v9
	v_fma_f32 v21, 0x3fb8aa3b, v11, -v15
	s_delay_alu instid0(VALU_DEP_4) | instskip(NEXT) | instid1(VALU_DEP_4)
	v_sub_f32_e32 v15, v15, v22
	v_exp_f32_e32 v14, v14
	s_delay_alu instid0(VALU_DEP_3)
	v_add_f32_e32 v16, v16, v23
	v_fma_f32 v17, 0x3fb8aa3b, v9, -v13
	v_rndne_f32_e32 v18, v13
	v_fmac_f32_e32 v21, 0x32a5705f, v11
	v_cmp_ngt_f32_e32 vcc_lo, 0xc2ce8ed0, v9
	v_cvt_i32_f32_e32 v19, v22
	v_fmac_f32_e32 v17, 0x32a5705f, v9
	v_sub_f32_e32 v13, v13, v18
	v_add_f32_e32 v15, v15, v21
	v_exp_f32_e32 v16, v16
	s_delay_alu instid0(VALU_DEP_2) | instskip(SKIP_1) | instid1(VALU_DEP_3)
	v_add_f32_e32 v13, v13, v17
	v_cvt_i32_f32_e32 v17, v18
	v_exp_f32_e32 v15, v15
	v_cvt_i32_f32_e32 v18, v20
	v_cvt_i32_f32_e32 v20, v24
	v_exp_f32_e32 v13, v13
	s_delay_alu instid0(VALU_DEP_2)
	v_ldexp_f32 v14, v14, v18
	s_delay_alu instid0(TRANS32_DEP_3) | instid1(VALU_DEP_2)
	v_ldexp_f32 v16, v16, v20
	s_waitcnt_depctr 0xfff
	v_ldexp_f32 v15, v15, v19
	v_ldexp_f32 v13, v13, v17
	s_delay_alu instid0(VALU_DEP_1)
	v_cndmask_b32_e32 v13, 0, v13, vcc_lo
	v_cmp_ngt_f32_e32 vcc_lo, 0xc2ce8ed0, v10
	v_cndmask_b32_e32 v14, 0, v14, vcc_lo
	v_cmp_ngt_f32_e32 vcc_lo, 0xc2ce8ed0, v11
	v_cndmask_b32_e32 v15, 0, v15, vcc_lo
	v_cmp_nlt_f32_e32 vcc_lo, 0x42b17218, v9
	v_cndmask_b32_e32 v9, 0x7f800000, v13, vcc_lo
	v_cmp_nlt_f32_e32 vcc_lo, 0x42b17218, v10
	v_cndmask_b32_e32 v10, 0x7f800000, v14, vcc_lo
	v_cmp_ngt_f32_e32 vcc_lo, 0xc2ce8ed0, v12
	s_delay_alu instid0(VALU_DEP_2) | instskip(SKIP_3) | instid1(VALU_DEP_2)
	v_dual_add_f32 v14, v9, v10 :: v_dual_cndmask_b32 v13, 0, v16
	v_cmp_nlt_f32_e32 vcc_lo, 0x42b17218, v11
	v_cndmask_b32_e32 v11, 0x7f800000, v15, vcc_lo
	v_cmp_nlt_f32_e32 vcc_lo, 0x42b17218, v12
	v_dual_cndmask_b32 v12, 0x7f800000, v13 :: v_dual_add_f32 v13, v14, v11
	s_delay_alu instid0(VALU_DEP_1)
	v_add_f32_e32 v13, v13, v12
	ds_bpermute_b32 v14, v3, v13
	s_waitcnt lgkmcnt(0)
	v_add_f32_e32 v13, v13, v14
	ds_bpermute_b32 v14, v4, v13
	s_waitcnt lgkmcnt(0)
	;; [unrolled: 3-line block ×4, first 2 shown]
	v_add_f32_e32 v13, v13, v14
	s_delay_alu instid0(VALU_DEP_1) | instskip(SKIP_1) | instid1(VALU_DEP_2)
	v_div_scale_f32 v14, null, v13, v13, 1.0
	v_div_scale_f32 v17, vcc_lo, 1.0, v13, 1.0
	v_rcp_f32_e32 v15, v14
	s_waitcnt_depctr 0xfff
	v_fma_f32 v16, -v14, v15, 1.0
	s_delay_alu instid0(VALU_DEP_1) | instskip(NEXT) | instid1(VALU_DEP_1)
	v_fmac_f32_e32 v15, v16, v15
	v_mul_f32_e32 v16, v17, v15
	s_delay_alu instid0(VALU_DEP_1) | instskip(NEXT) | instid1(VALU_DEP_1)
	v_fma_f32 v18, -v14, v16, v17
	v_fmac_f32_e32 v16, v18, v15
	s_delay_alu instid0(VALU_DEP_1) | instskip(NEXT) | instid1(VALU_DEP_1)
	v_fma_f32 v14, -v14, v16, v17
	v_div_fmas_f32 v14, v14, v15, v16
	s_delay_alu instid0(VALU_DEP_1) | instskip(NEXT) | instid1(VALU_DEP_1)
	v_div_fixup_f32 v13, v14, v13, 1.0
	v_mul_f32_e32 v7, v13, v9
	v_mul_f32_e32 v8, v13, v10
	;; [unrolled: 1-line block ×4, first 2 shown]
	ds_store_b128 v0, v[7:10]
	s_cbranch_scc1 .LBB36_26
; %bb.4:
	s_load_b128 s[8:11], s[2:3], 0x20
	v_mul_lo_u32 v7, v1, s4
	v_dual_mov_b32 v9, 0xc61c4000 :: v_dual_lshlrev_b32 v8, 2, v2
	v_cmp_eq_u32_e32 vcc_lo, 0, v2
	s_branch .LBB36_6
.LBB36_5:                               ;   in Loop: Header=BB36_6 Depth=1
	s_or_b32 exec_lo, exec_lo, s0
	v_add_nc_u32_e32 v1, s14, v1
	s_cmp_lg_u32 s4, s7
	s_cbranch_scc0 .LBB36_26
.LBB36_6:                               ; =>This Inner Loop Header: Depth=1
	ds_load_b128 v[10:13], v0
	s_mov_b32 s3, exec_lo
	s_waitcnt lgkmcnt(0)
	v_cmp_gt_f32_e64 s0, v11, v10
	s_delay_alu instid0(VALU_DEP_1) | instskip(SKIP_1) | instid1(VALU_DEP_2)
	v_cndmask_b32_e64 v10, v10, v11, s0
	v_cndmask_b32_e64 v11, 0, 1, s0
	v_cmp_gt_f32_e64 s0, v12, v10
	s_delay_alu instid0(VALU_DEP_1) | instskip(NEXT) | instid1(VALU_DEP_3)
	v_cndmask_b32_e64 v10, v10, v12, s0
	v_cndmask_b32_e64 v12, v11, 2, s0
	s_delay_alu instid0(VALU_DEP_2) | instskip(NEXT) | instid1(VALU_DEP_1)
	v_cmp_gt_f32_e64 s0, v13, v10
	v_cndmask_b32_e64 v11, v10, v13, s0
	s_delay_alu instid0(VALU_DEP_3)
	v_cndmask_b32_e64 v10, v12, 3, s0
	ds_bpermute_b32 v12, v3, v11
	v_or_b32_e32 v10, v8, v10
	ds_bpermute_b32 v13, v3, v10
	s_waitcnt lgkmcnt(1)
	v_cmp_lt_f32_e64 s2, v11, v12
	v_cmpx_nlt_f32_e32 v11, v12
	s_cbranch_execz .LBB36_8
; %bb.7:                                ;   in Loop: Header=BB36_6 Depth=1
	v_cmp_eq_f32_e64 s0, v11, v12
	s_waitcnt lgkmcnt(0)
	v_cmp_lt_i32_e64 s1, v13, v10
	s_delay_alu instid0(VALU_DEP_1) | instskip(SKIP_2) | instid1(SALU_CYCLE_1)
	s_and_b32 s0, s0, s1
	s_and_not1_b32 s1, s2, exec_lo
	s_and_b32 s0, s0, exec_lo
	s_or_b32 s2, s1, s0
.LBB36_8:                               ;   in Loop: Header=BB36_6 Depth=1
	s_or_b32 exec_lo, exec_lo, s3
	s_delay_alu instid0(VALU_DEP_2)
	s_and_saveexec_b32 s0, s2
	s_cbranch_execz .LBB36_10
; %bb.9:                                ;   in Loop: Header=BB36_6 Depth=1
	s_waitcnt lgkmcnt(0)
	v_dual_mov_b32 v11, v12 :: v_dual_mov_b32 v10, v13
.LBB36_10:                              ;   in Loop: Header=BB36_6 Depth=1
	s_or_b32 exec_lo, exec_lo, s0
	s_waitcnt lgkmcnt(0)
	ds_bpermute_b32 v13, v4, v11
	ds_bpermute_b32 v12, v4, v10
	s_mov_b32 s3, exec_lo
	s_waitcnt lgkmcnt(1)
	v_cmp_lt_f32_e64 s2, v11, v13
	v_cmpx_nlt_f32_e32 v11, v13
	s_cbranch_execz .LBB36_12
; %bb.11:                               ;   in Loop: Header=BB36_6 Depth=1
	v_cmp_eq_f32_e64 s0, v11, v13
	s_waitcnt lgkmcnt(0)
	v_cmp_lt_i32_e64 s1, v12, v10
	s_delay_alu instid0(VALU_DEP_1) | instskip(SKIP_2) | instid1(SALU_CYCLE_1)
	s_and_b32 s0, s0, s1
	s_and_not1_b32 s1, s2, exec_lo
	s_and_b32 s0, s0, exec_lo
	s_or_b32 s2, s1, s0
.LBB36_12:                              ;   in Loop: Header=BB36_6 Depth=1
	s_or_b32 exec_lo, exec_lo, s3
	s_delay_alu instid0(VALU_DEP_2)
	s_and_saveexec_b32 s0, s2
	s_cbranch_execz .LBB36_14
; %bb.13:                               ;   in Loop: Header=BB36_6 Depth=1
	s_waitcnt lgkmcnt(0)
	v_dual_mov_b32 v11, v13 :: v_dual_mov_b32 v10, v12
.LBB36_14:                              ;   in Loop: Header=BB36_6 Depth=1
	s_or_b32 exec_lo, exec_lo, s0
	ds_bpermute_b32 v13, v5, v11
	s_waitcnt lgkmcnt(1)
	ds_bpermute_b32 v12, v5, v10
	s_mov_b32 s3, exec_lo
	s_waitcnt lgkmcnt(1)
	v_cmp_lt_f32_e64 s2, v11, v13
	v_cmpx_nlt_f32_e32 v11, v13
	s_cbranch_execz .LBB36_16
; %bb.15:                               ;   in Loop: Header=BB36_6 Depth=1
	v_cmp_eq_f32_e64 s0, v11, v13
	s_waitcnt lgkmcnt(0)
	v_cmp_lt_i32_e64 s1, v12, v10
	s_delay_alu instid0(VALU_DEP_1) | instskip(SKIP_2) | instid1(SALU_CYCLE_1)
	s_and_b32 s0, s0, s1
	s_and_not1_b32 s1, s2, exec_lo
	s_and_b32 s0, s0, exec_lo
	s_or_b32 s2, s1, s0
.LBB36_16:                              ;   in Loop: Header=BB36_6 Depth=1
	s_or_b32 exec_lo, exec_lo, s3
	s_delay_alu instid0(VALU_DEP_2)
	s_and_saveexec_b32 s0, s2
	s_cbranch_execz .LBB36_18
; %bb.17:                               ;   in Loop: Header=BB36_6 Depth=1
	s_waitcnt lgkmcnt(0)
	v_dual_mov_b32 v11, v13 :: v_dual_mov_b32 v10, v12
.LBB36_18:                              ;   in Loop: Header=BB36_6 Depth=1
	s_or_b32 exec_lo, exec_lo, s0
	s_waitcnt lgkmcnt(0)
	ds_bpermute_b32 v12, v6, v11
	ds_bpermute_b32 v13, v6, v10
	s_mov_b32 s3, exec_lo
	s_waitcnt lgkmcnt(1)
	v_cmp_lt_f32_e64 s2, v11, v12
	v_cmpx_nlt_f32_e32 v11, v12
	s_cbranch_execnz .LBB36_24
; %bb.19:                               ;   in Loop: Header=BB36_6 Depth=1
	s_or_b32 exec_lo, exec_lo, s3
	s_delay_alu instid0(VALU_DEP_2)
	s_and_saveexec_b32 s0, s2
	s_cbranch_execnz .LBB36_25
.LBB36_20:                              ;   in Loop: Header=BB36_6 Depth=1
	s_or_b32 exec_lo, exec_lo, s0
	s_and_saveexec_b32 s2, vcc_lo
	s_cbranch_execz .LBB36_22
.LBB36_21:                              ;   in Loop: Header=BB36_6 Depth=1
	v_add_nc_u32_e32 v12, s7, v7
	v_cmp_le_i32_e64 s0, s5, v10
	v_cmp_gt_i32_e64 s1, s6, v10
	v_subrev_nc_u32_e32 v14, s5, v10
	s_waitcnt lgkmcnt(0)
	v_ashrrev_i32_e32 v13, 31, v12
	s_delay_alu instid0(VALU_DEP_3) | instskip(NEXT) | instid1(SALU_CYCLE_1)
	s_and_b32 s0, s0, s1
	s_and_b32 s0, s15, s0
	s_delay_alu instid0(VALU_DEP_1) | instskip(SKIP_1) | instid1(VALU_DEP_2)
	v_lshlrev_b64 v[12:13], 2, v[12:13]
	v_cndmask_b32_e64 v18, 64, v14, s0
	v_add_co_u32 v14, s0, s12, v12
	s_delay_alu instid0(VALU_DEP_1) | instskip(SKIP_1) | instid1(VALU_DEP_1)
	v_add_co_ci_u32_e64 v15, s0, s13, v13, s0
	v_add_co_u32 v16, s0, s8, v12
	v_add_co_ci_u32_e64 v17, s0, s9, v13, s0
	v_add_co_u32 v12, s0, s10, v12
	s_delay_alu instid0(VALU_DEP_1)
	v_add_co_ci_u32_e64 v13, s0, s11, v13, s0
	global_store_b32 v[14:15], v11, off
	global_store_b32 v[16:17], v18, off
	;; [unrolled: 1-line block ×3, first 2 shown]
.LBB36_22:                              ;   in Loop: Header=BB36_6 Depth=1
	s_or_b32 exec_lo, exec_lo, s2
	v_ashrrev_i32_e32 v11, 31, v10
	s_add_i32 s7, s7, 1
	s_delay_alu instid0(SALU_CYCLE_1) | instskip(SKIP_1) | instid1(VALU_DEP_1)
	s_cmp_lt_i32 s7, s4
	s_cselect_b32 s1, -1, 0
	v_lshrrev_b32_e32 v12, 30, v11
	s_delay_alu instid0(VALU_DEP_1) | instskip(SKIP_1) | instid1(VALU_DEP_1)
	v_add_nc_u32_e32 v12, v10, v12
	s_waitcnt lgkmcnt(0)
	v_ashrrev_i32_e32 v13, 31, v12
	v_ashrrev_i32_e32 v12, 2, v12
	s_delay_alu instid0(VALU_DEP_2) | instskip(NEXT) | instid1(VALU_DEP_1)
	v_lshrrev_b32_e32 v13, 28, v13
	v_add_nc_u32_e32 v13, v12, v13
	s_delay_alu instid0(VALU_DEP_1) | instskip(NEXT) | instid1(VALU_DEP_1)
	v_and_b32_e32 v13, -16, v13
	v_sub_nc_u32_e32 v13, v12, v13
	s_delay_alu instid0(VALU_DEP_1) | instskip(NEXT) | instid1(VALU_DEP_1)
	v_cmp_eq_u32_e64 s0, v2, v13
	s_and_b32 s1, s1, s0
	s_delay_alu instid0(SALU_CYCLE_1)
	s_and_saveexec_b32 s0, s1
	s_cbranch_execz .LBB36_5
; %bb.23:                               ;   in Loop: Header=BB36_6 Depth=1
	v_lshrrev_b32_e32 v11, 26, v11
	v_lshlrev_b32_e32 v12, 2, v12
	s_delay_alu instid0(VALU_DEP_2) | instskip(NEXT) | instid1(VALU_DEP_2)
	v_add_nc_u32_e32 v11, v10, v11
	v_sub_nc_u32_e32 v10, v10, v12
	s_delay_alu instid0(VALU_DEP_2) | instskip(NEXT) | instid1(VALU_DEP_1)
	v_ashrrev_i32_e32 v11, 6, v11
	v_lshl_add_u32 v10, v11, 2, v10
	s_delay_alu instid0(VALU_DEP_1)
	v_lshl_add_u32 v10, v10, 2, v0
	ds_store_b32 v10, v9
	s_branch .LBB36_5
.LBB36_24:                              ;   in Loop: Header=BB36_6 Depth=1
	v_cmp_eq_f32_e64 s0, v11, v12
	s_waitcnt lgkmcnt(0)
	v_cmp_lt_i32_e64 s1, v13, v10
	s_delay_alu instid0(VALU_DEP_1) | instskip(SKIP_2) | instid1(SALU_CYCLE_1)
	s_and_b32 s0, s0, s1
	s_and_not1_b32 s1, s2, exec_lo
	s_and_b32 s0, s0, exec_lo
	s_or_b32 s2, s1, s0
	s_or_b32 exec_lo, exec_lo, s3
	s_and_saveexec_b32 s0, s2
	s_cbranch_execz .LBB36_20
.LBB36_25:                              ;   in Loop: Header=BB36_6 Depth=1
	s_waitcnt lgkmcnt(0)
	v_dual_mov_b32 v11, v12 :: v_dual_mov_b32 v10, v13
	s_or_b32 exec_lo, exec_lo, s0
	s_and_saveexec_b32 s2, vcc_lo
	s_cbranch_execnz .LBB36_21
	s_branch .LBB36_22
.LBB36_26:
	s_nop 0
	s_sendmsg sendmsg(MSG_DEALLOC_VGPRS)
	s_endpgm
	.section	.rodata,"a",@progbits
	.p2align	6, 0x0
	.amdhsa_kernel _ZN4vllm3moe17topkGatingSoftmaxILi4ELi64ELi4ELi16ELi64EjEEvPKfPKbPfiPT4_Piiii
		.amdhsa_group_segment_fixed_size 4096
		.amdhsa_private_segment_fixed_size 0
		.amdhsa_kernarg_size 60
		.amdhsa_user_sgpr_count 15
		.amdhsa_user_sgpr_dispatch_ptr 1
		.amdhsa_user_sgpr_queue_ptr 0
		.amdhsa_user_sgpr_kernarg_segment_ptr 1
		.amdhsa_user_sgpr_dispatch_id 0
		.amdhsa_user_sgpr_private_segment_size 0
		.amdhsa_wavefront_size32 1
		.amdhsa_uses_dynamic_stack 0
		.amdhsa_enable_private_segment 0
		.amdhsa_system_sgpr_workgroup_id_x 1
		.amdhsa_system_sgpr_workgroup_id_y 0
		.amdhsa_system_sgpr_workgroup_id_z 0
		.amdhsa_system_sgpr_workgroup_info 0
		.amdhsa_system_vgpr_workitem_id 2
		.amdhsa_next_free_vgpr 25
		.amdhsa_next_free_sgpr 16
		.amdhsa_reserve_vcc 1
		.amdhsa_float_round_mode_32 0
		.amdhsa_float_round_mode_16_64 0
		.amdhsa_float_denorm_mode_32 3
		.amdhsa_float_denorm_mode_16_64 3
		.amdhsa_dx10_clamp 1
		.amdhsa_ieee_mode 1
		.amdhsa_fp16_overflow 0
		.amdhsa_workgroup_processor_mode 1
		.amdhsa_memory_ordered 1
		.amdhsa_forward_progress 0
		.amdhsa_shared_vgpr_count 0
		.amdhsa_exception_fp_ieee_invalid_op 0
		.amdhsa_exception_fp_denorm_src 0
		.amdhsa_exception_fp_ieee_div_zero 0
		.amdhsa_exception_fp_ieee_overflow 0
		.amdhsa_exception_fp_ieee_underflow 0
		.amdhsa_exception_fp_ieee_inexact 0
		.amdhsa_exception_int_div_zero 0
	.end_amdhsa_kernel
	.section	.text._ZN4vllm3moe17topkGatingSoftmaxILi4ELi64ELi4ELi16ELi64EjEEvPKfPKbPfiPT4_Piiii,"axG",@progbits,_ZN4vllm3moe17topkGatingSoftmaxILi4ELi64ELi4ELi16ELi64EjEEvPKfPKbPfiPT4_Piiii,comdat
.Lfunc_end36:
	.size	_ZN4vllm3moe17topkGatingSoftmaxILi4ELi64ELi4ELi16ELi64EjEEvPKfPKbPfiPT4_Piiii, .Lfunc_end36-_ZN4vllm3moe17topkGatingSoftmaxILi4ELi64ELi4ELi16ELi64EjEEvPKfPKbPfiPT4_Piiii
                                        ; -- End function
	.section	.AMDGPU.csdata,"",@progbits
; Kernel info:
; codeLenInByte = 2080
; NumSgprs: 18
; NumVgprs: 25
; ScratchSize: 0
; MemoryBound: 0
; FloatMode: 240
; IeeeMode: 1
; LDSByteSize: 4096 bytes/workgroup (compile time only)
; SGPRBlocks: 2
; VGPRBlocks: 3
; NumSGPRsForWavesPerEU: 18
; NumVGPRsForWavesPerEU: 25
; Occupancy: 16
; WaveLimiterHint : 0
; COMPUTE_PGM_RSRC2:SCRATCH_EN: 0
; COMPUTE_PGM_RSRC2:USER_SGPR: 15
; COMPUTE_PGM_RSRC2:TRAP_HANDLER: 0
; COMPUTE_PGM_RSRC2:TGID_X_EN: 1
; COMPUTE_PGM_RSRC2:TGID_Y_EN: 0
; COMPUTE_PGM_RSRC2:TGID_Z_EN: 0
; COMPUTE_PGM_RSRC2:TIDIG_COMP_CNT: 2
	.section	.text._ZN4vllm3moe17topkGatingSoftmaxILi4ELi64ELi4ELi16ELi32EjEEvPKfPKbPfiPT4_Piiii,"axG",@progbits,_ZN4vllm3moe17topkGatingSoftmaxILi4ELi64ELi4ELi16ELi32EjEEvPKfPKbPfiPT4_Piiii,comdat
	.protected	_ZN4vllm3moe17topkGatingSoftmaxILi4ELi64ELi4ELi16ELi32EjEEvPKfPKbPfiPT4_Piiii ; -- Begin function _ZN4vllm3moe17topkGatingSoftmaxILi4ELi64ELi4ELi16ELi32EjEEvPKfPKbPfiPT4_Piiii
	.globl	_ZN4vllm3moe17topkGatingSoftmaxILi4ELi64ELi4ELi16ELi32EjEEvPKfPKbPfiPT4_Piiii
	.p2align	8
	.type	_ZN4vllm3moe17topkGatingSoftmaxILi4ELi64ELi4ELi16ELi32EjEEvPKfPKbPfiPT4_Piiii,@function
_ZN4vllm3moe17topkGatingSoftmaxILi4ELi64ELi4ELi16ELi32EjEEvPKfPKbPfiPT4_Piiii: ; @_ZN4vllm3moe17topkGatingSoftmaxILi4ELi64ELi4ELi16ELi32EjEEvPKfPKbPfiPT4_Piiii
; %bb.0:
	s_load_b32 s14, s[2:3], 0x18
	v_bfe_u32 v8, v0, 10, 10
	v_and_b32_e32 v7, 0x3ff, v0
	s_lshl_b32 s4, s15, 3
	s_delay_alu instid0(VALU_DEP_2) | instskip(NEXT) | instid1(VALU_DEP_2)
	v_lshlrev_b32_e32 v1, 1, v8
	v_lshrrev_b32_e32 v2, 4, v7
	s_delay_alu instid0(VALU_DEP_1) | instskip(SKIP_2) | instid1(VALU_DEP_1)
	v_add3_u32 v1, s4, v1, v2
	s_mov_b32 s4, exec_lo
	s_waitcnt lgkmcnt(0)
	v_cmpx_gt_i32_e64 s14, v1
	s_cbranch_execz .LBB37_26
; %bb.1:
	s_clause 0x1
	s_load_b128 s[4:7], s[2:3], 0x0
	s_load_b64 s[12:13], s[2:3], 0x10
	s_mov_b32 s15, -1
	s_waitcnt lgkmcnt(0)
	s_cmp_eq_u64 s[6:7], 0
	s_cbranch_scc1 .LBB37_3
; %bb.2:
	v_ashrrev_i32_e32 v3, 31, v1
	v_add_co_u32 v2, vcc_lo, s6, v1
	s_delay_alu instid0(VALU_DEP_2) | instskip(SKIP_3) | instid1(VALU_DEP_1)
	v_add_co_ci_u32_e32 v3, vcc_lo, s7, v3, vcc_lo
	global_load_u8 v2, v[2:3], off
	s_waitcnt vmcnt(0)
	v_and_b32_e32 v2, 1, v2
	v_cmp_eq_u32_e32 vcc_lo, 1, v2
	s_xor_b32 s6, vcc_lo, -1
	s_delay_alu instid0(SALU_CYCLE_1)
	s_or_not1_b32 s15, s6, exec_lo
.LBB37_3:
	v_mbcnt_lo_u32_b32 v6, -1, 0
	v_lshlrev_b32_e32 v3, 6, v1
	v_and_b32_e32 v2, 15, v7
	s_load_b64 s[0:1], s[0:1], 0x4
	v_bfe_u32 v0, v0, 20, 10
	v_xor_b32_e32 v14, 4, v6
	v_ashrrev_i32_e32 v4, 31, v3
	v_lshlrev_b32_e32 v5, 4, v2
	s_delay_alu instid0(VALU_DEP_2) | instskip(NEXT) | instid1(VALU_DEP_1)
	v_lshlrev_b64 v[3:4], 2, v[3:4]
	v_add_co_u32 v3, vcc_lo, s4, v3
	s_delay_alu instid0(VALU_DEP_2) | instskip(SKIP_1) | instid1(VALU_DEP_2)
	v_add_co_ci_u32_e32 v4, vcc_lo, s5, v4, vcc_lo
	s_load_b128 s[4:7], s[2:3], 0x30
	v_add_co_u32 v3, vcc_lo, v3, v5
	s_delay_alu instid0(VALU_DEP_2)
	v_add_co_ci_u32_e32 v4, vcc_lo, 0, v4, vcc_lo
	s_waitcnt lgkmcnt(0)
	v_mul_u32_u24_e32 v8, s1, v8
	s_lshr_b32 s0, s0, 16
	s_mov_b32 s7, 0
	global_load_b128 v[9:12], v[3:4], off
	v_and_b32_e32 v3, 16, v6
	v_xor_b32_e32 v4, 8, v6
	s_mul_i32 s0, s0, s1
	s_delay_alu instid0(SALU_CYCLE_1) | instskip(NEXT) | instid1(VALU_DEP_3)
	v_mad_u32_u24 v7, s0, v7, v8
	v_add_nc_u32_e32 v13, 16, v3
	s_delay_alu instid0(VALU_DEP_2) | instskip(NEXT) | instid1(VALU_DEP_2)
	v_add_lshl_u32 v0, v7, v0, 4
	v_cmp_lt_i32_e32 vcc_lo, v4, v13
	s_cmp_lt_i32 s4, 1
	v_cndmask_b32_e32 v4, v6, v4, vcc_lo
	v_cmp_lt_i32_e32 vcc_lo, v14, v13
	v_cndmask_b32_e32 v14, v6, v14, vcc_lo
	s_waitcnt vmcnt(0)
	v_max_f32_e32 v3, v10, v10
	v_max_f32_e32 v5, v9, v9
	s_delay_alu instid0(VALU_DEP_1) | instskip(SKIP_1) | instid1(VALU_DEP_2)
	v_max_f32_e32 v5, v5, v3
	v_lshlrev_b32_e32 v3, 2, v4
	v_max3_f32 v5, v5, v11, v12
	ds_bpermute_b32 v4, v3, v5
	s_waitcnt lgkmcnt(0)
	v_dual_max_f32 v15, v4, v4 :: v_dual_lshlrev_b32 v4, 2, v14
	s_delay_alu instid0(VALU_DEP_1)
	v_max_f32_e32 v14, v5, v15
	v_xor_b32_e32 v15, 2, v6
	ds_bpermute_b32 v5, v4, v14
	v_cmp_lt_i32_e32 vcc_lo, v15, v13
	s_waitcnt lgkmcnt(0)
	v_dual_cndmask_b32 v15, v6, v15 :: v_dual_max_f32 v16, v5, v5
	s_delay_alu instid0(VALU_DEP_1)
	v_dual_max_f32 v14, v14, v16 :: v_dual_lshlrev_b32 v5, 2, v15
	v_xor_b32_e32 v16, 1, v6
	ds_bpermute_b32 v15, v5, v14
	v_cmp_lt_i32_e32 vcc_lo, v16, v13
	v_cndmask_b32_e32 v6, v6, v16, vcc_lo
	s_waitcnt lgkmcnt(0)
	s_delay_alu instid0(VALU_DEP_1) | instskip(NEXT) | instid1(VALU_DEP_1)
	v_dual_max_f32 v13, v15, v15 :: v_dual_lshlrev_b32 v6, 2, v6
	v_max_f32_e32 v13, v14, v13
	ds_bpermute_b32 v14, v6, v13
	s_waitcnt lgkmcnt(0)
	v_max_f32_e32 v14, v14, v14
	s_delay_alu instid0(VALU_DEP_1) | instskip(NEXT) | instid1(VALU_DEP_1)
	v_max_f32_e32 v13, v13, v14
	v_sub_f32_e32 v10, v10, v13
	s_delay_alu instid0(VALU_DEP_1) | instskip(NEXT) | instid1(VALU_DEP_1)
	v_mul_f32_e32 v14, 0x3fb8aa3b, v10
	v_rndne_f32_e32 v20, v14
	v_fma_f32 v19, 0x3fb8aa3b, v10, -v14
	s_delay_alu instid0(VALU_DEP_2) | instskip(SKIP_1) | instid1(VALU_DEP_1)
	v_sub_f32_e32 v14, v14, v20
	v_sub_f32_e32 v12, v12, v13
	v_dual_sub_f32 v11, v11, v13 :: v_dual_mul_f32 v16, 0x3fb8aa3b, v12
	s_delay_alu instid0(VALU_DEP_1) | instskip(SKIP_1) | instid1(VALU_DEP_3)
	v_mul_f32_e32 v15, 0x3fb8aa3b, v11
	v_fmac_f32_e32 v19, 0x32a5705f, v10
	v_fma_f32 v23, 0x3fb8aa3b, v12, -v16
	v_rndne_f32_e32 v24, v16
	v_sub_f32_e32 v9, v9, v13
	v_rndne_f32_e32 v22, v15
	s_delay_alu instid0(VALU_DEP_4) | instskip(NEXT) | instid1(VALU_DEP_3)
	v_dual_add_f32 v14, v14, v19 :: v_dual_fmac_f32 v23, 0x32a5705f, v12
	v_dual_sub_f32 v16, v16, v24 :: v_dual_mul_f32 v13, 0x3fb8aa3b, v9
	v_fma_f32 v21, 0x3fb8aa3b, v11, -v15
	s_delay_alu instid0(VALU_DEP_4) | instskip(NEXT) | instid1(VALU_DEP_4)
	v_sub_f32_e32 v15, v15, v22
	v_exp_f32_e32 v14, v14
	s_delay_alu instid0(VALU_DEP_3)
	v_add_f32_e32 v16, v16, v23
	v_fma_f32 v17, 0x3fb8aa3b, v9, -v13
	v_rndne_f32_e32 v18, v13
	v_fmac_f32_e32 v21, 0x32a5705f, v11
	v_cmp_ngt_f32_e32 vcc_lo, 0xc2ce8ed0, v9
	v_cvt_i32_f32_e32 v19, v22
	v_fmac_f32_e32 v17, 0x32a5705f, v9
	v_sub_f32_e32 v13, v13, v18
	v_add_f32_e32 v15, v15, v21
	v_exp_f32_e32 v16, v16
	s_delay_alu instid0(VALU_DEP_2) | instskip(SKIP_1) | instid1(VALU_DEP_3)
	v_add_f32_e32 v13, v13, v17
	v_cvt_i32_f32_e32 v17, v18
	v_exp_f32_e32 v15, v15
	v_cvt_i32_f32_e32 v18, v20
	v_cvt_i32_f32_e32 v20, v24
	v_exp_f32_e32 v13, v13
	s_delay_alu instid0(VALU_DEP_2)
	v_ldexp_f32 v14, v14, v18
	s_delay_alu instid0(TRANS32_DEP_3) | instid1(VALU_DEP_2)
	v_ldexp_f32 v16, v16, v20
	s_waitcnt_depctr 0xfff
	v_ldexp_f32 v15, v15, v19
	v_ldexp_f32 v13, v13, v17
	s_delay_alu instid0(VALU_DEP_1)
	v_cndmask_b32_e32 v13, 0, v13, vcc_lo
	v_cmp_ngt_f32_e32 vcc_lo, 0xc2ce8ed0, v10
	v_cndmask_b32_e32 v14, 0, v14, vcc_lo
	v_cmp_ngt_f32_e32 vcc_lo, 0xc2ce8ed0, v11
	v_cndmask_b32_e32 v15, 0, v15, vcc_lo
	v_cmp_nlt_f32_e32 vcc_lo, 0x42b17218, v9
	v_cndmask_b32_e32 v9, 0x7f800000, v13, vcc_lo
	v_cmp_nlt_f32_e32 vcc_lo, 0x42b17218, v10
	v_cndmask_b32_e32 v10, 0x7f800000, v14, vcc_lo
	v_cmp_ngt_f32_e32 vcc_lo, 0xc2ce8ed0, v12
	s_delay_alu instid0(VALU_DEP_2) | instskip(SKIP_3) | instid1(VALU_DEP_2)
	v_dual_add_f32 v14, v9, v10 :: v_dual_cndmask_b32 v13, 0, v16
	v_cmp_nlt_f32_e32 vcc_lo, 0x42b17218, v11
	v_cndmask_b32_e32 v11, 0x7f800000, v15, vcc_lo
	v_cmp_nlt_f32_e32 vcc_lo, 0x42b17218, v12
	v_dual_cndmask_b32 v12, 0x7f800000, v13 :: v_dual_add_f32 v13, v14, v11
	s_delay_alu instid0(VALU_DEP_1)
	v_add_f32_e32 v13, v13, v12
	ds_bpermute_b32 v14, v3, v13
	s_waitcnt lgkmcnt(0)
	v_add_f32_e32 v13, v13, v14
	ds_bpermute_b32 v14, v4, v13
	s_waitcnt lgkmcnt(0)
	;; [unrolled: 3-line block ×4, first 2 shown]
	v_add_f32_e32 v13, v13, v14
	s_delay_alu instid0(VALU_DEP_1) | instskip(SKIP_1) | instid1(VALU_DEP_2)
	v_div_scale_f32 v14, null, v13, v13, 1.0
	v_div_scale_f32 v17, vcc_lo, 1.0, v13, 1.0
	v_rcp_f32_e32 v15, v14
	s_waitcnt_depctr 0xfff
	v_fma_f32 v16, -v14, v15, 1.0
	s_delay_alu instid0(VALU_DEP_1) | instskip(NEXT) | instid1(VALU_DEP_1)
	v_fmac_f32_e32 v15, v16, v15
	v_mul_f32_e32 v16, v17, v15
	s_delay_alu instid0(VALU_DEP_1) | instskip(NEXT) | instid1(VALU_DEP_1)
	v_fma_f32 v18, -v14, v16, v17
	v_fmac_f32_e32 v16, v18, v15
	s_delay_alu instid0(VALU_DEP_1) | instskip(NEXT) | instid1(VALU_DEP_1)
	v_fma_f32 v14, -v14, v16, v17
	v_div_fmas_f32 v14, v14, v15, v16
	s_delay_alu instid0(VALU_DEP_1) | instskip(NEXT) | instid1(VALU_DEP_1)
	v_div_fixup_f32 v13, v14, v13, 1.0
	v_mul_f32_e32 v7, v13, v9
	v_mul_f32_e32 v8, v13, v10
	;; [unrolled: 1-line block ×4, first 2 shown]
	ds_store_b128 v0, v[7:10]
	s_cbranch_scc1 .LBB37_26
; %bb.4:
	s_load_b128 s[8:11], s[2:3], 0x20
	v_mul_lo_u32 v7, v1, s4
	v_dual_mov_b32 v9, 0xc61c4000 :: v_dual_lshlrev_b32 v8, 2, v2
	v_cmp_eq_u32_e32 vcc_lo, 0, v2
	s_branch .LBB37_6
.LBB37_5:                               ;   in Loop: Header=BB37_6 Depth=1
	s_or_b32 exec_lo, exec_lo, s0
	v_add_nc_u32_e32 v1, s14, v1
	s_cmp_lg_u32 s4, s7
	s_cbranch_scc0 .LBB37_26
.LBB37_6:                               ; =>This Inner Loop Header: Depth=1
	ds_load_b128 v[10:13], v0
	s_mov_b32 s3, exec_lo
	s_waitcnt lgkmcnt(0)
	v_cmp_gt_f32_e64 s0, v11, v10
	s_delay_alu instid0(VALU_DEP_1) | instskip(SKIP_1) | instid1(VALU_DEP_2)
	v_cndmask_b32_e64 v10, v10, v11, s0
	v_cndmask_b32_e64 v11, 0, 1, s0
	v_cmp_gt_f32_e64 s0, v12, v10
	s_delay_alu instid0(VALU_DEP_1) | instskip(NEXT) | instid1(VALU_DEP_3)
	v_cndmask_b32_e64 v10, v10, v12, s0
	v_cndmask_b32_e64 v12, v11, 2, s0
	s_delay_alu instid0(VALU_DEP_2) | instskip(NEXT) | instid1(VALU_DEP_1)
	v_cmp_gt_f32_e64 s0, v13, v10
	v_cndmask_b32_e64 v11, v10, v13, s0
	s_delay_alu instid0(VALU_DEP_3)
	v_cndmask_b32_e64 v10, v12, 3, s0
	ds_bpermute_b32 v12, v3, v11
	v_or_b32_e32 v10, v8, v10
	ds_bpermute_b32 v13, v3, v10
	s_waitcnt lgkmcnt(1)
	v_cmp_lt_f32_e64 s2, v11, v12
	v_cmpx_nlt_f32_e32 v11, v12
	s_cbranch_execz .LBB37_8
; %bb.7:                                ;   in Loop: Header=BB37_6 Depth=1
	v_cmp_eq_f32_e64 s0, v11, v12
	s_waitcnt lgkmcnt(0)
	v_cmp_lt_i32_e64 s1, v13, v10
	s_delay_alu instid0(VALU_DEP_1) | instskip(SKIP_2) | instid1(SALU_CYCLE_1)
	s_and_b32 s0, s0, s1
	s_and_not1_b32 s1, s2, exec_lo
	s_and_b32 s0, s0, exec_lo
	s_or_b32 s2, s1, s0
.LBB37_8:                               ;   in Loop: Header=BB37_6 Depth=1
	s_or_b32 exec_lo, exec_lo, s3
	s_delay_alu instid0(VALU_DEP_2)
	s_and_saveexec_b32 s0, s2
	s_cbranch_execz .LBB37_10
; %bb.9:                                ;   in Loop: Header=BB37_6 Depth=1
	s_waitcnt lgkmcnt(0)
	v_dual_mov_b32 v11, v12 :: v_dual_mov_b32 v10, v13
.LBB37_10:                              ;   in Loop: Header=BB37_6 Depth=1
	s_or_b32 exec_lo, exec_lo, s0
	s_waitcnt lgkmcnt(0)
	ds_bpermute_b32 v13, v4, v11
	ds_bpermute_b32 v12, v4, v10
	s_mov_b32 s3, exec_lo
	s_waitcnt lgkmcnt(1)
	v_cmp_lt_f32_e64 s2, v11, v13
	v_cmpx_nlt_f32_e32 v11, v13
	s_cbranch_execz .LBB37_12
; %bb.11:                               ;   in Loop: Header=BB37_6 Depth=1
	v_cmp_eq_f32_e64 s0, v11, v13
	s_waitcnt lgkmcnt(0)
	v_cmp_lt_i32_e64 s1, v12, v10
	s_delay_alu instid0(VALU_DEP_1) | instskip(SKIP_2) | instid1(SALU_CYCLE_1)
	s_and_b32 s0, s0, s1
	s_and_not1_b32 s1, s2, exec_lo
	s_and_b32 s0, s0, exec_lo
	s_or_b32 s2, s1, s0
.LBB37_12:                              ;   in Loop: Header=BB37_6 Depth=1
	s_or_b32 exec_lo, exec_lo, s3
	s_delay_alu instid0(VALU_DEP_2)
	s_and_saveexec_b32 s0, s2
	s_cbranch_execz .LBB37_14
; %bb.13:                               ;   in Loop: Header=BB37_6 Depth=1
	s_waitcnt lgkmcnt(0)
	v_dual_mov_b32 v11, v13 :: v_dual_mov_b32 v10, v12
.LBB37_14:                              ;   in Loop: Header=BB37_6 Depth=1
	s_or_b32 exec_lo, exec_lo, s0
	ds_bpermute_b32 v13, v5, v11
	s_waitcnt lgkmcnt(1)
	ds_bpermute_b32 v12, v5, v10
	s_mov_b32 s3, exec_lo
	s_waitcnt lgkmcnt(1)
	v_cmp_lt_f32_e64 s2, v11, v13
	v_cmpx_nlt_f32_e32 v11, v13
	s_cbranch_execz .LBB37_16
; %bb.15:                               ;   in Loop: Header=BB37_6 Depth=1
	v_cmp_eq_f32_e64 s0, v11, v13
	s_waitcnt lgkmcnt(0)
	v_cmp_lt_i32_e64 s1, v12, v10
	s_delay_alu instid0(VALU_DEP_1) | instskip(SKIP_2) | instid1(SALU_CYCLE_1)
	s_and_b32 s0, s0, s1
	s_and_not1_b32 s1, s2, exec_lo
	s_and_b32 s0, s0, exec_lo
	s_or_b32 s2, s1, s0
.LBB37_16:                              ;   in Loop: Header=BB37_6 Depth=1
	s_or_b32 exec_lo, exec_lo, s3
	s_delay_alu instid0(VALU_DEP_2)
	s_and_saveexec_b32 s0, s2
	s_cbranch_execz .LBB37_18
; %bb.17:                               ;   in Loop: Header=BB37_6 Depth=1
	s_waitcnt lgkmcnt(0)
	v_dual_mov_b32 v11, v13 :: v_dual_mov_b32 v10, v12
.LBB37_18:                              ;   in Loop: Header=BB37_6 Depth=1
	s_or_b32 exec_lo, exec_lo, s0
	s_waitcnt lgkmcnt(0)
	ds_bpermute_b32 v12, v6, v11
	ds_bpermute_b32 v13, v6, v10
	s_mov_b32 s3, exec_lo
	s_waitcnt lgkmcnt(1)
	v_cmp_lt_f32_e64 s2, v11, v12
	v_cmpx_nlt_f32_e32 v11, v12
	s_cbranch_execnz .LBB37_24
; %bb.19:                               ;   in Loop: Header=BB37_6 Depth=1
	s_or_b32 exec_lo, exec_lo, s3
	s_delay_alu instid0(VALU_DEP_2)
	s_and_saveexec_b32 s0, s2
	s_cbranch_execnz .LBB37_25
.LBB37_20:                              ;   in Loop: Header=BB37_6 Depth=1
	s_or_b32 exec_lo, exec_lo, s0
	s_and_saveexec_b32 s2, vcc_lo
	s_cbranch_execz .LBB37_22
.LBB37_21:                              ;   in Loop: Header=BB37_6 Depth=1
	v_add_nc_u32_e32 v12, s7, v7
	v_cmp_le_i32_e64 s0, s5, v10
	v_cmp_gt_i32_e64 s1, s6, v10
	v_subrev_nc_u32_e32 v14, s5, v10
	s_waitcnt lgkmcnt(0)
	v_ashrrev_i32_e32 v13, 31, v12
	s_delay_alu instid0(VALU_DEP_3) | instskip(NEXT) | instid1(SALU_CYCLE_1)
	s_and_b32 s0, s0, s1
	s_and_b32 s0, s15, s0
	s_delay_alu instid0(VALU_DEP_1) | instskip(SKIP_1) | instid1(VALU_DEP_2)
	v_lshlrev_b64 v[12:13], 2, v[12:13]
	v_cndmask_b32_e64 v18, 64, v14, s0
	v_add_co_u32 v14, s0, s12, v12
	s_delay_alu instid0(VALU_DEP_1) | instskip(SKIP_1) | instid1(VALU_DEP_1)
	v_add_co_ci_u32_e64 v15, s0, s13, v13, s0
	v_add_co_u32 v16, s0, s8, v12
	v_add_co_ci_u32_e64 v17, s0, s9, v13, s0
	v_add_co_u32 v12, s0, s10, v12
	s_delay_alu instid0(VALU_DEP_1)
	v_add_co_ci_u32_e64 v13, s0, s11, v13, s0
	global_store_b32 v[14:15], v11, off
	global_store_b32 v[16:17], v18, off
	;; [unrolled: 1-line block ×3, first 2 shown]
.LBB37_22:                              ;   in Loop: Header=BB37_6 Depth=1
	s_or_b32 exec_lo, exec_lo, s2
	v_ashrrev_i32_e32 v11, 31, v10
	s_add_i32 s7, s7, 1
	s_delay_alu instid0(SALU_CYCLE_1) | instskip(SKIP_1) | instid1(VALU_DEP_1)
	s_cmp_lt_i32 s7, s4
	s_cselect_b32 s1, -1, 0
	v_lshrrev_b32_e32 v12, 30, v11
	s_delay_alu instid0(VALU_DEP_1) | instskip(SKIP_1) | instid1(VALU_DEP_1)
	v_add_nc_u32_e32 v12, v10, v12
	s_waitcnt lgkmcnt(0)
	v_ashrrev_i32_e32 v13, 31, v12
	v_ashrrev_i32_e32 v12, 2, v12
	s_delay_alu instid0(VALU_DEP_2) | instskip(NEXT) | instid1(VALU_DEP_1)
	v_lshrrev_b32_e32 v13, 28, v13
	v_add_nc_u32_e32 v13, v12, v13
	s_delay_alu instid0(VALU_DEP_1) | instskip(NEXT) | instid1(VALU_DEP_1)
	v_and_b32_e32 v13, -16, v13
	v_sub_nc_u32_e32 v13, v12, v13
	s_delay_alu instid0(VALU_DEP_1) | instskip(NEXT) | instid1(VALU_DEP_1)
	v_cmp_eq_u32_e64 s0, v2, v13
	s_and_b32 s1, s1, s0
	s_delay_alu instid0(SALU_CYCLE_1)
	s_and_saveexec_b32 s0, s1
	s_cbranch_execz .LBB37_5
; %bb.23:                               ;   in Loop: Header=BB37_6 Depth=1
	v_lshrrev_b32_e32 v11, 26, v11
	v_lshlrev_b32_e32 v12, 2, v12
	s_delay_alu instid0(VALU_DEP_2) | instskip(NEXT) | instid1(VALU_DEP_2)
	v_add_nc_u32_e32 v11, v10, v11
	v_sub_nc_u32_e32 v10, v10, v12
	s_delay_alu instid0(VALU_DEP_2) | instskip(NEXT) | instid1(VALU_DEP_1)
	v_ashrrev_i32_e32 v11, 6, v11
	v_lshl_add_u32 v10, v11, 2, v10
	s_delay_alu instid0(VALU_DEP_1)
	v_lshl_add_u32 v10, v10, 2, v0
	ds_store_b32 v10, v9
	s_branch .LBB37_5
.LBB37_24:                              ;   in Loop: Header=BB37_6 Depth=1
	v_cmp_eq_f32_e64 s0, v11, v12
	s_waitcnt lgkmcnt(0)
	v_cmp_lt_i32_e64 s1, v13, v10
	s_delay_alu instid0(VALU_DEP_1) | instskip(SKIP_2) | instid1(SALU_CYCLE_1)
	s_and_b32 s0, s0, s1
	s_and_not1_b32 s1, s2, exec_lo
	s_and_b32 s0, s0, exec_lo
	s_or_b32 s2, s1, s0
	s_or_b32 exec_lo, exec_lo, s3
	s_and_saveexec_b32 s0, s2
	s_cbranch_execz .LBB37_20
.LBB37_25:                              ;   in Loop: Header=BB37_6 Depth=1
	s_waitcnt lgkmcnt(0)
	v_dual_mov_b32 v11, v12 :: v_dual_mov_b32 v10, v13
	s_or_b32 exec_lo, exec_lo, s0
	s_and_saveexec_b32 s2, vcc_lo
	s_cbranch_execnz .LBB37_21
	s_branch .LBB37_22
.LBB37_26:
	s_nop 0
	s_sendmsg sendmsg(MSG_DEALLOC_VGPRS)
	s_endpgm
	.section	.rodata,"a",@progbits
	.p2align	6, 0x0
	.amdhsa_kernel _ZN4vllm3moe17topkGatingSoftmaxILi4ELi64ELi4ELi16ELi32EjEEvPKfPKbPfiPT4_Piiii
		.amdhsa_group_segment_fixed_size 2048
		.amdhsa_private_segment_fixed_size 0
		.amdhsa_kernarg_size 60
		.amdhsa_user_sgpr_count 15
		.amdhsa_user_sgpr_dispatch_ptr 1
		.amdhsa_user_sgpr_queue_ptr 0
		.amdhsa_user_sgpr_kernarg_segment_ptr 1
		.amdhsa_user_sgpr_dispatch_id 0
		.amdhsa_user_sgpr_private_segment_size 0
		.amdhsa_wavefront_size32 1
		.amdhsa_uses_dynamic_stack 0
		.amdhsa_enable_private_segment 0
		.amdhsa_system_sgpr_workgroup_id_x 1
		.amdhsa_system_sgpr_workgroup_id_y 0
		.amdhsa_system_sgpr_workgroup_id_z 0
		.amdhsa_system_sgpr_workgroup_info 0
		.amdhsa_system_vgpr_workitem_id 2
		.amdhsa_next_free_vgpr 25
		.amdhsa_next_free_sgpr 16
		.amdhsa_reserve_vcc 1
		.amdhsa_float_round_mode_32 0
		.amdhsa_float_round_mode_16_64 0
		.amdhsa_float_denorm_mode_32 3
		.amdhsa_float_denorm_mode_16_64 3
		.amdhsa_dx10_clamp 1
		.amdhsa_ieee_mode 1
		.amdhsa_fp16_overflow 0
		.amdhsa_workgroup_processor_mode 1
		.amdhsa_memory_ordered 1
		.amdhsa_forward_progress 0
		.amdhsa_shared_vgpr_count 0
		.amdhsa_exception_fp_ieee_invalid_op 0
		.amdhsa_exception_fp_denorm_src 0
		.amdhsa_exception_fp_ieee_div_zero 0
		.amdhsa_exception_fp_ieee_overflow 0
		.amdhsa_exception_fp_ieee_underflow 0
		.amdhsa_exception_fp_ieee_inexact 0
		.amdhsa_exception_int_div_zero 0
	.end_amdhsa_kernel
	.section	.text._ZN4vllm3moe17topkGatingSoftmaxILi4ELi64ELi4ELi16ELi32EjEEvPKfPKbPfiPT4_Piiii,"axG",@progbits,_ZN4vllm3moe17topkGatingSoftmaxILi4ELi64ELi4ELi16ELi32EjEEvPKfPKbPfiPT4_Piiii,comdat
.Lfunc_end37:
	.size	_ZN4vllm3moe17topkGatingSoftmaxILi4ELi64ELi4ELi16ELi32EjEEvPKfPKbPfiPT4_Piiii, .Lfunc_end37-_ZN4vllm3moe17topkGatingSoftmaxILi4ELi64ELi4ELi16ELi32EjEEvPKfPKbPfiPT4_Piiii
                                        ; -- End function
	.section	.AMDGPU.csdata,"",@progbits
; Kernel info:
; codeLenInByte = 2076
; NumSgprs: 18
; NumVgprs: 25
; ScratchSize: 0
; MemoryBound: 0
; FloatMode: 240
; IeeeMode: 1
; LDSByteSize: 2048 bytes/workgroup (compile time only)
; SGPRBlocks: 2
; VGPRBlocks: 3
; NumSGPRsForWavesPerEU: 18
; NumVGPRsForWavesPerEU: 25
; Occupancy: 16
; WaveLimiterHint : 0
; COMPUTE_PGM_RSRC2:SCRATCH_EN: 0
; COMPUTE_PGM_RSRC2:USER_SGPR: 15
; COMPUTE_PGM_RSRC2:TRAP_HANDLER: 0
; COMPUTE_PGM_RSRC2:TGID_X_EN: 1
; COMPUTE_PGM_RSRC2:TGID_Y_EN: 0
; COMPUTE_PGM_RSRC2:TGID_Z_EN: 0
; COMPUTE_PGM_RSRC2:TIDIG_COMP_CNT: 2
	.section	.text._ZN4vllm3moe17topkGatingSoftmaxILi4ELi128ELi4ELi16ELi64EjEEvPKfPKbPfiPT4_Piiii,"axG",@progbits,_ZN4vllm3moe17topkGatingSoftmaxILi4ELi128ELi4ELi16ELi64EjEEvPKfPKbPfiPT4_Piiii,comdat
	.protected	_ZN4vllm3moe17topkGatingSoftmaxILi4ELi128ELi4ELi16ELi64EjEEvPKfPKbPfiPT4_Piiii ; -- Begin function _ZN4vllm3moe17topkGatingSoftmaxILi4ELi128ELi4ELi16ELi64EjEEvPKfPKbPfiPT4_Piiii
	.globl	_ZN4vllm3moe17topkGatingSoftmaxILi4ELi128ELi4ELi16ELi64EjEEvPKfPKbPfiPT4_Piiii
	.p2align	8
	.type	_ZN4vllm3moe17topkGatingSoftmaxILi4ELi128ELi4ELi16ELi64EjEEvPKfPKbPfiPT4_Piiii,@function
_ZN4vllm3moe17topkGatingSoftmaxILi4ELi128ELi4ELi16ELi64EjEEvPKfPKbPfiPT4_Piiii: ; @_ZN4vllm3moe17topkGatingSoftmaxILi4ELi128ELi4ELi16ELi64EjEEvPKfPKbPfiPT4_Piiii
; %bb.0:
	s_load_b32 s14, s[2:3], 0x18
	v_bfe_u32 v8, v0, 10, 10
	v_and_b32_e32 v9, 0x3ff, v0
	s_lshl_b32 s4, s15, 3
	s_delay_alu instid0(VALU_DEP_2) | instskip(NEXT) | instid1(VALU_DEP_2)
	v_lshlrev_b32_e32 v1, 1, v8
	v_lshrrev_b32_e32 v2, 5, v9
	s_delay_alu instid0(VALU_DEP_1) | instskip(SKIP_2) | instid1(VALU_DEP_1)
	v_add3_u32 v1, s4, v1, v2
	s_mov_b32 s4, exec_lo
	s_waitcnt lgkmcnt(0)
	v_cmpx_gt_i32_e64 s14, v1
	s_cbranch_execz .LBB38_30
; %bb.1:
	s_clause 0x1
	s_load_b128 s[4:7], s[2:3], 0x0
	s_load_b64 s[12:13], s[2:3], 0x10
	s_mov_b32 s15, -1
	s_waitcnt lgkmcnt(0)
	s_cmp_eq_u64 s[6:7], 0
	s_cbranch_scc1 .LBB38_3
; %bb.2:
	v_ashrrev_i32_e32 v3, 31, v1
	v_add_co_u32 v2, vcc_lo, s6, v1
	s_delay_alu instid0(VALU_DEP_2) | instskip(SKIP_3) | instid1(VALU_DEP_1)
	v_add_co_ci_u32_e32 v3, vcc_lo, s7, v3, vcc_lo
	global_load_u8 v2, v[2:3], off
	s_waitcnt vmcnt(0)
	v_and_b32_e32 v2, 1, v2
	v_cmp_eq_u32_e32 vcc_lo, 1, v2
	s_xor_b32 s6, vcc_lo, -1
	s_delay_alu instid0(SALU_CYCLE_1)
	s_or_not1_b32 s15, s6, exec_lo
.LBB38_3:
	v_lshlrev_b32_e32 v3, 7, v1
	v_and_b32_e32 v2, 31, v9
	v_mbcnt_lo_u32_b32 v7, -1, 0
	s_load_b64 s[0:1], s[0:1], 0x4
	v_bfe_u32 v0, v0, 20, 10
	v_ashrrev_i32_e32 v4, 31, v3
	v_lshlrev_b32_e32 v5, 4, v2
	v_xor_b32_e32 v6, 8, v7
	s_delay_alu instid0(VALU_DEP_3) | instskip(NEXT) | instid1(VALU_DEP_1)
	v_lshlrev_b64 v[3:4], 2, v[3:4]
	v_add_co_u32 v3, vcc_lo, s4, v3
	s_delay_alu instid0(VALU_DEP_2) | instskip(SKIP_1) | instid1(VALU_DEP_2)
	v_add_co_ci_u32_e32 v4, vcc_lo, s5, v4, vcc_lo
	s_load_b128 s[4:7], s[2:3], 0x30
	v_add_co_u32 v3, vcc_lo, v3, v5
	s_delay_alu instid0(VALU_DEP_2)
	v_add_co_ci_u32_e32 v4, vcc_lo, 0, v4, vcc_lo
	s_waitcnt lgkmcnt(0)
	s_lshr_b32 s0, s0, 16
	s_mov_b32 s7, 0
	s_mul_i32 s0, s0, s1
	global_load_b128 v[10:13], v[3:4], off
	v_xor_b32_e32 v3, 16, v7
	v_mul_lo_u32 v9, s0, v9
	s_delay_alu instid0(VALU_DEP_2) | instskip(NEXT) | instid1(VALU_DEP_2)
	v_cmp_gt_i32_e32 vcc_lo, 32, v3
	v_mad_u32_u24 v8, v8, s1, v9
	s_cmp_lt_i32 s4, 1
	s_delay_alu instid0(VALU_DEP_1) | instskip(SKIP_4) | instid1(VALU_DEP_2)
	v_add_lshl_u32 v0, v8, v0, 4
	s_waitcnt vmcnt(0)
	v_dual_max_f32 v4, v11, v11 :: v_dual_max_f32 v5, v10, v10
	v_cndmask_b32_e32 v3, v7, v3, vcc_lo
	v_cmp_gt_i32_e32 vcc_lo, 32, v6
	v_dual_max_f32 v4, v5, v4 :: v_dual_lshlrev_b32 v3, 2, v3
	v_cndmask_b32_e32 v6, v7, v6, vcc_lo
	s_delay_alu instid0(VALU_DEP_2) | instskip(SKIP_4) | instid1(VALU_DEP_2)
	v_max3_f32 v5, v4, v12, v13
	ds_bpermute_b32 v4, v3, v5
	s_waitcnt lgkmcnt(0)
	v_max_f32_e32 v14, v4, v4
	v_lshlrev_b32_e32 v4, 2, v6
	v_max_f32_e32 v6, v5, v14
	v_xor_b32_e32 v14, 4, v7
	ds_bpermute_b32 v5, v4, v6
	v_cmp_gt_i32_e32 vcc_lo, 32, v14
	s_waitcnt lgkmcnt(0)
	v_dual_cndmask_b32 v14, v7, v14 :: v_dual_max_f32 v15, v5, v5
	s_delay_alu instid0(VALU_DEP_1)
	v_dual_max_f32 v14, v6, v15 :: v_dual_lshlrev_b32 v5, 2, v14
	v_xor_b32_e32 v15, 2, v7
	ds_bpermute_b32 v6, v5, v14
	v_cmp_gt_i32_e32 vcc_lo, 32, v15
	s_waitcnt lgkmcnt(0)
	v_dual_cndmask_b32 v15, v7, v15 :: v_dual_max_f32 v16, v6, v6
	s_delay_alu instid0(VALU_DEP_1) | instskip(SKIP_1) | instid1(VALU_DEP_1)
	v_max_f32_e32 v14, v14, v16
	v_xor_b32_e32 v16, 1, v7
	v_cmp_gt_i32_e32 vcc_lo, 32, v16
	s_delay_alu instid0(VALU_DEP_4) | instskip(SKIP_4) | instid1(VALU_DEP_1)
	v_dual_cndmask_b32 v7, v7, v16 :: v_dual_lshlrev_b32 v6, 2, v15
	ds_bpermute_b32 v15, v6, v14
	v_lshlrev_b32_e32 v7, 2, v7
	s_waitcnt lgkmcnt(0)
	v_max_f32_e32 v15, v15, v15
	v_max_f32_e32 v14, v14, v15
	ds_bpermute_b32 v15, v7, v14
	s_waitcnt lgkmcnt(0)
	v_max_f32_e32 v15, v15, v15
	s_delay_alu instid0(VALU_DEP_1) | instskip(NEXT) | instid1(VALU_DEP_1)
	v_max_f32_e32 v14, v14, v15
	v_sub_f32_e32 v11, v11, v14
	s_delay_alu instid0(VALU_DEP_1) | instskip(NEXT) | instid1(VALU_DEP_1)
	v_mul_f32_e32 v15, 0x3fb8aa3b, v11
	v_rndne_f32_e32 v21, v15
	v_fma_f32 v20, 0x3fb8aa3b, v11, -v15
	s_delay_alu instid0(VALU_DEP_2) | instskip(SKIP_1) | instid1(VALU_DEP_1)
	v_sub_f32_e32 v15, v15, v21
	v_sub_f32_e32 v13, v13, v14
	v_dual_sub_f32 v12, v12, v14 :: v_dual_mul_f32 v17, 0x3fb8aa3b, v13
	s_delay_alu instid0(VALU_DEP_1) | instskip(SKIP_1) | instid1(VALU_DEP_3)
	v_mul_f32_e32 v16, 0x3fb8aa3b, v12
	v_fmac_f32_e32 v20, 0x32a5705f, v11
	v_rndne_f32_e32 v25, v17
	v_sub_f32_e32 v10, v10, v14
	v_fma_f32 v24, 0x3fb8aa3b, v13, -v17
	s_delay_alu instid0(VALU_DEP_4) | instskip(SKIP_1) | instid1(VALU_DEP_4)
	v_add_f32_e32 v15, v15, v20
	v_fma_f32 v22, 0x3fb8aa3b, v12, -v16
	v_dual_sub_f32 v17, v17, v25 :: v_dual_mul_f32 v14, 0x3fb8aa3b, v10
	v_rndne_f32_e32 v23, v16
	s_delay_alu instid0(VALU_DEP_4)
	v_exp_f32_e32 v15, v15
	v_cmp_ngt_f32_e32 vcc_lo, 0xc2ce8ed0, v10
	v_fmac_f32_e32 v22, 0x32a5705f, v12
	v_fma_f32 v18, 0x3fb8aa3b, v10, -v14
	v_rndne_f32_e32 v19, v14
	v_sub_f32_e32 v16, v16, v23
	v_cvt_i32_f32_e32 v20, v23
	s_delay_alu instid0(VALU_DEP_4) | instskip(NEXT) | instid1(VALU_DEP_4)
	v_fmac_f32_e32 v18, 0x32a5705f, v10
	v_sub_f32_e32 v14, v14, v19
	v_fmac_f32_e32 v24, 0x32a5705f, v13
	s_delay_alu instid0(VALU_DEP_2) | instskip(SKIP_2) | instid1(VALU_DEP_4)
	v_add_f32_e32 v14, v14, v18
	v_cvt_i32_f32_e32 v18, v19
	v_cvt_i32_f32_e32 v19, v21
	v_add_f32_e32 v17, v17, v24
	v_cvt_i32_f32_e32 v21, v25
	v_exp_f32_e32 v14, v14
	s_delay_alu instid0(VALU_DEP_3) | instskip(NEXT) | instid1(VALU_DEP_3)
	v_ldexp_f32 v15, v15, v19
	v_exp_f32_e32 v17, v17
	s_waitcnt_depctr 0xfff
	v_ldexp_f32 v14, v14, v18
	v_ldexp_f32 v17, v17, v21
	s_delay_alu instid0(VALU_DEP_2) | instskip(SKIP_3) | instid1(VALU_DEP_2)
	v_cndmask_b32_e32 v14, 0, v14, vcc_lo
	v_cmp_ngt_f32_e32 vcc_lo, 0xc2ce8ed0, v11
	v_dual_cndmask_b32 v15, 0, v15 :: v_dual_add_f32 v16, v16, v22
	v_cmp_ngt_f32_e32 vcc_lo, 0xc2ce8ed0, v12
	v_exp_f32_e32 v16, v16
	s_waitcnt_depctr 0xfff
	v_ldexp_f32 v16, v16, v20
	s_delay_alu instid0(VALU_DEP_1)
	v_cndmask_b32_e32 v16, 0, v16, vcc_lo
	v_cmp_nlt_f32_e32 vcc_lo, 0x42b17218, v10
	v_cndmask_b32_e32 v10, 0x7f800000, v14, vcc_lo
	v_cmp_nlt_f32_e32 vcc_lo, 0x42b17218, v11
	v_cndmask_b32_e32 v11, 0x7f800000, v15, vcc_lo
	v_cmp_ngt_f32_e32 vcc_lo, 0xc2ce8ed0, v13
	s_delay_alu instid0(VALU_DEP_2) | instskip(SKIP_3) | instid1(VALU_DEP_2)
	v_dual_add_f32 v15, v10, v11 :: v_dual_cndmask_b32 v14, 0, v17
	v_cmp_nlt_f32_e32 vcc_lo, 0x42b17218, v12
	v_cndmask_b32_e32 v12, 0x7f800000, v16, vcc_lo
	v_cmp_nlt_f32_e32 vcc_lo, 0x42b17218, v13
	v_dual_cndmask_b32 v13, 0x7f800000, v14 :: v_dual_add_f32 v14, v15, v12
	s_delay_alu instid0(VALU_DEP_1)
	v_add_f32_e32 v14, v14, v13
	ds_bpermute_b32 v15, v3, v14
	s_waitcnt lgkmcnt(0)
	v_add_f32_e32 v14, v14, v15
	ds_bpermute_b32 v15, v4, v14
	s_waitcnt lgkmcnt(0)
	v_add_f32_e32 v14, v14, v15
	ds_bpermute_b32 v15, v5, v14
	s_waitcnt lgkmcnt(0)
	v_add_f32_e32 v14, v14, v15
	ds_bpermute_b32 v15, v6, v14
	s_waitcnt lgkmcnt(0)
	v_add_f32_e32 v14, v14, v15
	ds_bpermute_b32 v15, v7, v14
	s_waitcnt lgkmcnt(0)
	v_add_f32_e32 v14, v14, v15
	s_delay_alu instid0(VALU_DEP_1) | instskip(SKIP_1) | instid1(VALU_DEP_2)
	v_div_scale_f32 v15, null, v14, v14, 1.0
	v_div_scale_f32 v18, vcc_lo, 1.0, v14, 1.0
	v_rcp_f32_e32 v16, v15
	s_waitcnt_depctr 0xfff
	v_fma_f32 v17, -v15, v16, 1.0
	s_delay_alu instid0(VALU_DEP_1) | instskip(NEXT) | instid1(VALU_DEP_1)
	v_fmac_f32_e32 v16, v17, v16
	v_mul_f32_e32 v17, v18, v16
	s_delay_alu instid0(VALU_DEP_1) | instskip(NEXT) | instid1(VALU_DEP_1)
	v_fma_f32 v19, -v15, v17, v18
	v_fmac_f32_e32 v17, v19, v16
	s_delay_alu instid0(VALU_DEP_1) | instskip(NEXT) | instid1(VALU_DEP_1)
	v_fma_f32 v15, -v15, v17, v18
	v_div_fmas_f32 v15, v15, v16, v17
	s_delay_alu instid0(VALU_DEP_1) | instskip(NEXT) | instid1(VALU_DEP_1)
	v_div_fixup_f32 v14, v15, v14, 1.0
	v_mul_f32_e32 v9, v14, v11
	v_mul_f32_e32 v11, v14, v13
	;; [unrolled: 1-line block ×4, first 2 shown]
	ds_store_b128 v0, v[8:11]
	s_cbranch_scc1 .LBB38_30
; %bb.4:
	s_load_b128 s[8:11], s[2:3], 0x20
	v_mul_lo_u32 v8, v1, s4
	v_dual_mov_b32 v10, 0xc61c4000 :: v_dual_lshlrev_b32 v9, 2, v2
	v_cmp_eq_u32_e32 vcc_lo, 0, v2
	s_branch .LBB38_6
.LBB38_5:                               ;   in Loop: Header=BB38_6 Depth=1
	s_or_b32 exec_lo, exec_lo, s0
	v_add_nc_u32_e32 v1, s14, v1
	s_cmp_lg_u32 s4, s7
	s_cbranch_scc0 .LBB38_30
.LBB38_6:                               ; =>This Inner Loop Header: Depth=1
	ds_load_b128 v[11:14], v0
	s_mov_b32 s3, exec_lo
	s_waitcnt lgkmcnt(0)
	v_cmp_gt_f32_e64 s0, v12, v11
	s_delay_alu instid0(VALU_DEP_1) | instskip(SKIP_1) | instid1(VALU_DEP_2)
	v_cndmask_b32_e64 v11, v11, v12, s0
	v_cndmask_b32_e64 v12, 0, 1, s0
	v_cmp_gt_f32_e64 s0, v13, v11
	s_delay_alu instid0(VALU_DEP_1) | instskip(NEXT) | instid1(VALU_DEP_3)
	v_cndmask_b32_e64 v11, v11, v13, s0
	v_cndmask_b32_e64 v13, v12, 2, s0
	s_delay_alu instid0(VALU_DEP_2) | instskip(NEXT) | instid1(VALU_DEP_1)
	v_cmp_gt_f32_e64 s0, v14, v11
	v_cndmask_b32_e64 v12, v11, v14, s0
	s_delay_alu instid0(VALU_DEP_3)
	v_cndmask_b32_e64 v11, v13, 3, s0
	ds_bpermute_b32 v13, v3, v12
	v_or_b32_e32 v11, v9, v11
	ds_bpermute_b32 v14, v3, v11
	s_waitcnt lgkmcnt(1)
	v_cmp_lt_f32_e64 s2, v12, v13
	v_cmpx_nlt_f32_e32 v12, v13
	s_cbranch_execz .LBB38_8
; %bb.7:                                ;   in Loop: Header=BB38_6 Depth=1
	v_cmp_eq_f32_e64 s0, v12, v13
	s_waitcnt lgkmcnt(0)
	v_cmp_lt_i32_e64 s1, v14, v11
	s_delay_alu instid0(VALU_DEP_1) | instskip(SKIP_2) | instid1(SALU_CYCLE_1)
	s_and_b32 s0, s0, s1
	s_and_not1_b32 s1, s2, exec_lo
	s_and_b32 s0, s0, exec_lo
	s_or_b32 s2, s1, s0
.LBB38_8:                               ;   in Loop: Header=BB38_6 Depth=1
	s_or_b32 exec_lo, exec_lo, s3
	s_delay_alu instid0(VALU_DEP_2)
	s_and_saveexec_b32 s0, s2
	s_cbranch_execz .LBB38_10
; %bb.9:                                ;   in Loop: Header=BB38_6 Depth=1
	s_waitcnt lgkmcnt(0)
	v_dual_mov_b32 v12, v13 :: v_dual_mov_b32 v11, v14
.LBB38_10:                              ;   in Loop: Header=BB38_6 Depth=1
	s_or_b32 exec_lo, exec_lo, s0
	s_waitcnt lgkmcnt(0)
	ds_bpermute_b32 v14, v4, v12
	ds_bpermute_b32 v13, v4, v11
	s_mov_b32 s3, exec_lo
	s_waitcnt lgkmcnt(1)
	v_cmp_lt_f32_e64 s2, v12, v14
	v_cmpx_nlt_f32_e32 v12, v14
	s_cbranch_execz .LBB38_12
; %bb.11:                               ;   in Loop: Header=BB38_6 Depth=1
	v_cmp_eq_f32_e64 s0, v12, v14
	s_waitcnt lgkmcnt(0)
	v_cmp_lt_i32_e64 s1, v13, v11
	s_delay_alu instid0(VALU_DEP_1) | instskip(SKIP_2) | instid1(SALU_CYCLE_1)
	s_and_b32 s0, s0, s1
	s_and_not1_b32 s1, s2, exec_lo
	s_and_b32 s0, s0, exec_lo
	s_or_b32 s2, s1, s0
.LBB38_12:                              ;   in Loop: Header=BB38_6 Depth=1
	s_or_b32 exec_lo, exec_lo, s3
	s_delay_alu instid0(VALU_DEP_2)
	s_and_saveexec_b32 s0, s2
	s_cbranch_execz .LBB38_14
; %bb.13:                               ;   in Loop: Header=BB38_6 Depth=1
	s_waitcnt lgkmcnt(0)
	v_dual_mov_b32 v12, v14 :: v_dual_mov_b32 v11, v13
.LBB38_14:                              ;   in Loop: Header=BB38_6 Depth=1
	s_or_b32 exec_lo, exec_lo, s0
	ds_bpermute_b32 v14, v5, v12
	s_waitcnt lgkmcnt(1)
	ds_bpermute_b32 v13, v5, v11
	s_mov_b32 s3, exec_lo
	s_waitcnt lgkmcnt(1)
	v_cmp_lt_f32_e64 s2, v12, v14
	v_cmpx_nlt_f32_e32 v12, v14
	s_cbranch_execz .LBB38_16
; %bb.15:                               ;   in Loop: Header=BB38_6 Depth=1
	v_cmp_eq_f32_e64 s0, v12, v14
	s_waitcnt lgkmcnt(0)
	v_cmp_lt_i32_e64 s1, v13, v11
	s_delay_alu instid0(VALU_DEP_1) | instskip(SKIP_2) | instid1(SALU_CYCLE_1)
	s_and_b32 s0, s0, s1
	s_and_not1_b32 s1, s2, exec_lo
	s_and_b32 s0, s0, exec_lo
	s_or_b32 s2, s1, s0
.LBB38_16:                              ;   in Loop: Header=BB38_6 Depth=1
	s_or_b32 exec_lo, exec_lo, s3
	s_delay_alu instid0(VALU_DEP_2)
	s_and_saveexec_b32 s0, s2
	s_cbranch_execz .LBB38_18
; %bb.17:                               ;   in Loop: Header=BB38_6 Depth=1
	s_waitcnt lgkmcnt(0)
	v_dual_mov_b32 v12, v14 :: v_dual_mov_b32 v11, v13
.LBB38_18:                              ;   in Loop: Header=BB38_6 Depth=1
	s_or_b32 exec_lo, exec_lo, s0
	ds_bpermute_b32 v14, v6, v12
	s_waitcnt lgkmcnt(1)
	ds_bpermute_b32 v13, v6, v11
	s_mov_b32 s3, exec_lo
	s_waitcnt lgkmcnt(1)
	v_cmp_lt_f32_e64 s2, v12, v14
	v_cmpx_nlt_f32_e32 v12, v14
	s_cbranch_execz .LBB38_20
; %bb.19:                               ;   in Loop: Header=BB38_6 Depth=1
	v_cmp_eq_f32_e64 s0, v12, v14
	s_waitcnt lgkmcnt(0)
	v_cmp_lt_i32_e64 s1, v13, v11
	s_delay_alu instid0(VALU_DEP_1) | instskip(SKIP_2) | instid1(SALU_CYCLE_1)
	s_and_b32 s0, s0, s1
	s_and_not1_b32 s1, s2, exec_lo
	s_and_b32 s0, s0, exec_lo
	s_or_b32 s2, s1, s0
.LBB38_20:                              ;   in Loop: Header=BB38_6 Depth=1
	s_or_b32 exec_lo, exec_lo, s3
	s_delay_alu instid0(VALU_DEP_2)
	s_and_saveexec_b32 s0, s2
	s_cbranch_execz .LBB38_22
; %bb.21:                               ;   in Loop: Header=BB38_6 Depth=1
	s_waitcnt lgkmcnt(0)
	v_dual_mov_b32 v12, v14 :: v_dual_mov_b32 v11, v13
.LBB38_22:                              ;   in Loop: Header=BB38_6 Depth=1
	s_or_b32 exec_lo, exec_lo, s0
	s_waitcnt lgkmcnt(0)
	ds_bpermute_b32 v13, v7, v12
	ds_bpermute_b32 v14, v7, v11
	s_mov_b32 s3, exec_lo
	s_waitcnt lgkmcnt(1)
	v_cmp_lt_f32_e64 s2, v12, v13
	v_cmpx_nlt_f32_e32 v12, v13
	s_cbranch_execnz .LBB38_28
; %bb.23:                               ;   in Loop: Header=BB38_6 Depth=1
	s_or_b32 exec_lo, exec_lo, s3
	s_delay_alu instid0(VALU_DEP_2)
	s_and_saveexec_b32 s0, s2
	s_cbranch_execnz .LBB38_29
.LBB38_24:                              ;   in Loop: Header=BB38_6 Depth=1
	s_or_b32 exec_lo, exec_lo, s0
	s_and_saveexec_b32 s2, vcc_lo
	s_cbranch_execz .LBB38_26
.LBB38_25:                              ;   in Loop: Header=BB38_6 Depth=1
	v_add_nc_u32_e32 v13, s7, v8
	v_cmp_le_i32_e64 s0, s5, v11
	v_cmp_gt_i32_e64 s1, s6, v11
	v_subrev_nc_u32_e32 v15, s5, v11
	s_waitcnt lgkmcnt(0)
	v_ashrrev_i32_e32 v14, 31, v13
	s_delay_alu instid0(VALU_DEP_3) | instskip(NEXT) | instid1(SALU_CYCLE_1)
	s_and_b32 s0, s0, s1
	s_and_b32 s0, s15, s0
	s_delay_alu instid0(VALU_DEP_1) | instskip(SKIP_1) | instid1(VALU_DEP_2)
	v_lshlrev_b64 v[13:14], 2, v[13:14]
	v_cndmask_b32_e64 v19, 0x80, v15, s0
	v_add_co_u32 v15, s0, s12, v13
	s_delay_alu instid0(VALU_DEP_1) | instskip(SKIP_1) | instid1(VALU_DEP_1)
	v_add_co_ci_u32_e64 v16, s0, s13, v14, s0
	v_add_co_u32 v17, s0, s8, v13
	v_add_co_ci_u32_e64 v18, s0, s9, v14, s0
	v_add_co_u32 v13, s0, s10, v13
	s_delay_alu instid0(VALU_DEP_1)
	v_add_co_ci_u32_e64 v14, s0, s11, v14, s0
	global_store_b32 v[15:16], v12, off
	global_store_b32 v[17:18], v19, off
	;; [unrolled: 1-line block ×3, first 2 shown]
.LBB38_26:                              ;   in Loop: Header=BB38_6 Depth=1
	s_or_b32 exec_lo, exec_lo, s2
	v_ashrrev_i32_e32 v12, 31, v11
	s_add_i32 s7, s7, 1
	s_delay_alu instid0(SALU_CYCLE_1) | instskip(SKIP_1) | instid1(VALU_DEP_1)
	s_cmp_lt_i32 s7, s4
	s_cselect_b32 s1, -1, 0
	v_lshrrev_b32_e32 v13, 30, v12
	s_delay_alu instid0(VALU_DEP_1) | instskip(SKIP_1) | instid1(VALU_DEP_1)
	v_add_nc_u32_e32 v13, v11, v13
	s_waitcnt lgkmcnt(0)
	v_ashrrev_i32_e32 v14, 31, v13
	v_ashrrev_i32_e32 v13, 2, v13
	s_delay_alu instid0(VALU_DEP_2) | instskip(NEXT) | instid1(VALU_DEP_1)
	v_lshrrev_b32_e32 v14, 27, v14
	v_add_nc_u32_e32 v14, v13, v14
	s_delay_alu instid0(VALU_DEP_1) | instskip(NEXT) | instid1(VALU_DEP_1)
	v_and_b32_e32 v14, 0xffffffe0, v14
	v_sub_nc_u32_e32 v14, v13, v14
	s_delay_alu instid0(VALU_DEP_1) | instskip(NEXT) | instid1(VALU_DEP_1)
	v_cmp_eq_u32_e64 s0, v2, v14
	s_and_b32 s1, s1, s0
	s_delay_alu instid0(SALU_CYCLE_1)
	s_and_saveexec_b32 s0, s1
	s_cbranch_execz .LBB38_5
; %bb.27:                               ;   in Loop: Header=BB38_6 Depth=1
	v_lshrrev_b32_e32 v12, 25, v12
	v_lshlrev_b32_e32 v13, 2, v13
	s_delay_alu instid0(VALU_DEP_2) | instskip(NEXT) | instid1(VALU_DEP_2)
	v_add_nc_u32_e32 v12, v11, v12
	v_sub_nc_u32_e32 v11, v11, v13
	s_delay_alu instid0(VALU_DEP_2) | instskip(NEXT) | instid1(VALU_DEP_1)
	v_ashrrev_i32_e32 v12, 7, v12
	v_lshl_add_u32 v11, v12, 2, v11
	s_delay_alu instid0(VALU_DEP_1)
	v_lshl_add_u32 v11, v11, 2, v0
	ds_store_b32 v11, v10
	s_branch .LBB38_5
.LBB38_28:                              ;   in Loop: Header=BB38_6 Depth=1
	v_cmp_eq_f32_e64 s0, v12, v13
	s_waitcnt lgkmcnt(0)
	v_cmp_lt_i32_e64 s1, v14, v11
	s_delay_alu instid0(VALU_DEP_1) | instskip(SKIP_2) | instid1(SALU_CYCLE_1)
	s_and_b32 s0, s0, s1
	s_and_not1_b32 s1, s2, exec_lo
	s_and_b32 s0, s0, exec_lo
	s_or_b32 s2, s1, s0
	s_or_b32 exec_lo, exec_lo, s3
	s_and_saveexec_b32 s0, s2
	s_cbranch_execz .LBB38_24
.LBB38_29:                              ;   in Loop: Header=BB38_6 Depth=1
	s_waitcnt lgkmcnt(0)
	v_dual_mov_b32 v12, v13 :: v_dual_mov_b32 v11, v14
	s_or_b32 exec_lo, exec_lo, s0
	s_and_saveexec_b32 s2, vcc_lo
	s_cbranch_execnz .LBB38_25
	s_branch .LBB38_26
.LBB38_30:
	s_nop 0
	s_sendmsg sendmsg(MSG_DEALLOC_VGPRS)
	s_endpgm
	.section	.rodata,"a",@progbits
	.p2align	6, 0x0
	.amdhsa_kernel _ZN4vllm3moe17topkGatingSoftmaxILi4ELi128ELi4ELi16ELi64EjEEvPKfPKbPfiPT4_Piiii
		.amdhsa_group_segment_fixed_size 4096
		.amdhsa_private_segment_fixed_size 0
		.amdhsa_kernarg_size 60
		.amdhsa_user_sgpr_count 15
		.amdhsa_user_sgpr_dispatch_ptr 1
		.amdhsa_user_sgpr_queue_ptr 0
		.amdhsa_user_sgpr_kernarg_segment_ptr 1
		.amdhsa_user_sgpr_dispatch_id 0
		.amdhsa_user_sgpr_private_segment_size 0
		.amdhsa_wavefront_size32 1
		.amdhsa_uses_dynamic_stack 0
		.amdhsa_enable_private_segment 0
		.amdhsa_system_sgpr_workgroup_id_x 1
		.amdhsa_system_sgpr_workgroup_id_y 0
		.amdhsa_system_sgpr_workgroup_id_z 0
		.amdhsa_system_sgpr_workgroup_info 0
		.amdhsa_system_vgpr_workitem_id 2
		.amdhsa_next_free_vgpr 26
		.amdhsa_next_free_sgpr 16
		.amdhsa_reserve_vcc 1
		.amdhsa_float_round_mode_32 0
		.amdhsa_float_round_mode_16_64 0
		.amdhsa_float_denorm_mode_32 3
		.amdhsa_float_denorm_mode_16_64 3
		.amdhsa_dx10_clamp 1
		.amdhsa_ieee_mode 1
		.amdhsa_fp16_overflow 0
		.amdhsa_workgroup_processor_mode 1
		.amdhsa_memory_ordered 1
		.amdhsa_forward_progress 0
		.amdhsa_shared_vgpr_count 0
		.amdhsa_exception_fp_ieee_invalid_op 0
		.amdhsa_exception_fp_denorm_src 0
		.amdhsa_exception_fp_ieee_div_zero 0
		.amdhsa_exception_fp_ieee_overflow 0
		.amdhsa_exception_fp_ieee_underflow 0
		.amdhsa_exception_fp_ieee_inexact 0
		.amdhsa_exception_int_div_zero 0
	.end_amdhsa_kernel
	.section	.text._ZN4vllm3moe17topkGatingSoftmaxILi4ELi128ELi4ELi16ELi64EjEEvPKfPKbPfiPT4_Piiii,"axG",@progbits,_ZN4vllm3moe17topkGatingSoftmaxILi4ELi128ELi4ELi16ELi64EjEEvPKfPKbPfiPT4_Piiii,comdat
.Lfunc_end38:
	.size	_ZN4vllm3moe17topkGatingSoftmaxILi4ELi128ELi4ELi16ELi64EjEEvPKfPKbPfiPT4_Piiii, .Lfunc_end38-_ZN4vllm3moe17topkGatingSoftmaxILi4ELi128ELi4ELi16ELi64EjEEvPKfPKbPfiPT4_Piiii
                                        ; -- End function
	.section	.AMDGPU.csdata,"",@progbits
; Kernel info:
; codeLenInByte = 2252
; NumSgprs: 18
; NumVgprs: 26
; ScratchSize: 0
; MemoryBound: 0
; FloatMode: 240
; IeeeMode: 1
; LDSByteSize: 4096 bytes/workgroup (compile time only)
; SGPRBlocks: 2
; VGPRBlocks: 3
; NumSGPRsForWavesPerEU: 18
; NumVGPRsForWavesPerEU: 26
; Occupancy: 16
; WaveLimiterHint : 0
; COMPUTE_PGM_RSRC2:SCRATCH_EN: 0
; COMPUTE_PGM_RSRC2:USER_SGPR: 15
; COMPUTE_PGM_RSRC2:TRAP_HANDLER: 0
; COMPUTE_PGM_RSRC2:TGID_X_EN: 1
; COMPUTE_PGM_RSRC2:TGID_Y_EN: 0
; COMPUTE_PGM_RSRC2:TGID_Z_EN: 0
; COMPUTE_PGM_RSRC2:TIDIG_COMP_CNT: 2
	.section	.text._ZN4vllm3moe17topkGatingSoftmaxILi4ELi128ELi4ELi16ELi32EjEEvPKfPKbPfiPT4_Piiii,"axG",@progbits,_ZN4vllm3moe17topkGatingSoftmaxILi4ELi128ELi4ELi16ELi32EjEEvPKfPKbPfiPT4_Piiii,comdat
	.protected	_ZN4vllm3moe17topkGatingSoftmaxILi4ELi128ELi4ELi16ELi32EjEEvPKfPKbPfiPT4_Piiii ; -- Begin function _ZN4vllm3moe17topkGatingSoftmaxILi4ELi128ELi4ELi16ELi32EjEEvPKfPKbPfiPT4_Piiii
	.globl	_ZN4vllm3moe17topkGatingSoftmaxILi4ELi128ELi4ELi16ELi32EjEEvPKfPKbPfiPT4_Piiii
	.p2align	8
	.type	_ZN4vllm3moe17topkGatingSoftmaxILi4ELi128ELi4ELi16ELi32EjEEvPKfPKbPfiPT4_Piiii,@function
_ZN4vllm3moe17topkGatingSoftmaxILi4ELi128ELi4ELi16ELi32EjEEvPKfPKbPfiPT4_Piiii: ; @_ZN4vllm3moe17topkGatingSoftmaxILi4ELi128ELi4ELi16ELi32EjEEvPKfPKbPfiPT4_Piiii
; %bb.0:
	s_load_b32 s14, s[2:3], 0x18
	v_and_b32_e32 v8, 0x3ff, v0
	v_bfe_u32 v9, v0, 10, 10
	s_lshl_b32 s4, s15, 2
	s_delay_alu instid0(VALU_DEP_2) | instskip(NEXT) | instid1(VALU_DEP_1)
	v_lshrrev_b32_e32 v1, 5, v8
	v_add3_u32 v1, s4, v9, v1
	s_mov_b32 s4, exec_lo
	s_waitcnt lgkmcnt(0)
	s_delay_alu instid0(VALU_DEP_1)
	v_cmpx_gt_i32_e64 s14, v1
	s_cbranch_execz .LBB39_30
; %bb.1:
	s_clause 0x1
	s_load_b128 s[4:7], s[2:3], 0x0
	s_load_b64 s[12:13], s[2:3], 0x10
	s_mov_b32 s15, -1
	s_waitcnt lgkmcnt(0)
	s_cmp_eq_u64 s[6:7], 0
	s_cbranch_scc1 .LBB39_3
; %bb.2:
	v_ashrrev_i32_e32 v3, 31, v1
	v_add_co_u32 v2, vcc_lo, s6, v1
	s_delay_alu instid0(VALU_DEP_2) | instskip(SKIP_3) | instid1(VALU_DEP_1)
	v_add_co_ci_u32_e32 v3, vcc_lo, s7, v3, vcc_lo
	global_load_u8 v2, v[2:3], off
	s_waitcnt vmcnt(0)
	v_and_b32_e32 v2, 1, v2
	v_cmp_eq_u32_e32 vcc_lo, 1, v2
	s_xor_b32 s6, vcc_lo, -1
	s_delay_alu instid0(SALU_CYCLE_1)
	s_or_not1_b32 s15, s6, exec_lo
.LBB39_3:
	v_lshlrev_b32_e32 v3, 7, v1
	v_and_b32_e32 v2, 31, v8
	v_mbcnt_lo_u32_b32 v7, -1, 0
	s_load_b64 s[0:1], s[0:1], 0x4
	v_bfe_u32 v0, v0, 20, 10
	v_ashrrev_i32_e32 v4, 31, v3
	v_lshlrev_b32_e32 v5, 4, v2
	v_xor_b32_e32 v6, 8, v7
	s_delay_alu instid0(VALU_DEP_3) | instskip(NEXT) | instid1(VALU_DEP_1)
	v_lshlrev_b64 v[3:4], 2, v[3:4]
	v_add_co_u32 v3, vcc_lo, s4, v3
	s_delay_alu instid0(VALU_DEP_2) | instskip(SKIP_1) | instid1(VALU_DEP_2)
	v_add_co_ci_u32_e32 v4, vcc_lo, s5, v4, vcc_lo
	s_load_b128 s[4:7], s[2:3], 0x30
	v_add_co_u32 v3, vcc_lo, v3, v5
	s_delay_alu instid0(VALU_DEP_2)
	v_add_co_ci_u32_e32 v4, vcc_lo, 0, v4, vcc_lo
	s_waitcnt lgkmcnt(0)
	v_mul_u32_u24_e32 v9, s1, v9
	s_lshr_b32 s0, s0, 16
	s_mov_b32 s7, 0
	global_load_b128 v[10:13], v[3:4], off
	v_xor_b32_e32 v3, 16, v7
	s_mul_i32 s0, s0, s1
	s_delay_alu instid0(SALU_CYCLE_1) | instskip(NEXT) | instid1(VALU_DEP_2)
	v_mad_u32_u24 v8, s0, v8, v9
	v_cmp_gt_i32_e32 vcc_lo, 32, v3
	s_delay_alu instid0(VALU_DEP_2)
	v_add_lshl_u32 v0, v8, v0, 4
	s_cmp_lt_i32 s4, 1
	s_waitcnt vmcnt(0)
	v_dual_max_f32 v4, v11, v11 :: v_dual_max_f32 v5, v10, v10
	v_cndmask_b32_e32 v3, v7, v3, vcc_lo
	v_cmp_gt_i32_e32 vcc_lo, 32, v6
	s_delay_alu instid0(VALU_DEP_2) | instskip(SKIP_1) | instid1(VALU_DEP_2)
	v_dual_max_f32 v4, v5, v4 :: v_dual_lshlrev_b32 v3, 2, v3
	v_cndmask_b32_e32 v6, v7, v6, vcc_lo
	v_max3_f32 v5, v4, v12, v13
	ds_bpermute_b32 v4, v3, v5
	s_waitcnt lgkmcnt(0)
	v_max_f32_e32 v14, v4, v4
	v_lshlrev_b32_e32 v4, 2, v6
	s_delay_alu instid0(VALU_DEP_2)
	v_max_f32_e32 v6, v5, v14
	v_xor_b32_e32 v14, 4, v7
	ds_bpermute_b32 v5, v4, v6
	v_cmp_gt_i32_e32 vcc_lo, 32, v14
	s_waitcnt lgkmcnt(0)
	v_dual_cndmask_b32 v14, v7, v14 :: v_dual_max_f32 v15, v5, v5
	s_delay_alu instid0(VALU_DEP_1)
	v_dual_max_f32 v14, v6, v15 :: v_dual_lshlrev_b32 v5, 2, v14
	v_xor_b32_e32 v15, 2, v7
	ds_bpermute_b32 v6, v5, v14
	v_cmp_gt_i32_e32 vcc_lo, 32, v15
	s_waitcnt lgkmcnt(0)
	v_dual_cndmask_b32 v15, v7, v15 :: v_dual_max_f32 v16, v6, v6
	s_delay_alu instid0(VALU_DEP_1) | instskip(SKIP_1) | instid1(VALU_DEP_1)
	v_max_f32_e32 v14, v14, v16
	v_xor_b32_e32 v16, 1, v7
	v_cmp_gt_i32_e32 vcc_lo, 32, v16
	s_delay_alu instid0(VALU_DEP_4) | instskip(SKIP_4) | instid1(VALU_DEP_1)
	v_dual_cndmask_b32 v7, v7, v16 :: v_dual_lshlrev_b32 v6, 2, v15
	ds_bpermute_b32 v15, v6, v14
	v_lshlrev_b32_e32 v7, 2, v7
	s_waitcnt lgkmcnt(0)
	v_max_f32_e32 v15, v15, v15
	v_max_f32_e32 v14, v14, v15
	ds_bpermute_b32 v15, v7, v14
	s_waitcnt lgkmcnt(0)
	v_max_f32_e32 v15, v15, v15
	s_delay_alu instid0(VALU_DEP_1) | instskip(NEXT) | instid1(VALU_DEP_1)
	v_max_f32_e32 v14, v14, v15
	v_sub_f32_e32 v11, v11, v14
	s_delay_alu instid0(VALU_DEP_1) | instskip(NEXT) | instid1(VALU_DEP_1)
	v_mul_f32_e32 v15, 0x3fb8aa3b, v11
	v_rndne_f32_e32 v21, v15
	v_fma_f32 v20, 0x3fb8aa3b, v11, -v15
	s_delay_alu instid0(VALU_DEP_2) | instskip(SKIP_1) | instid1(VALU_DEP_1)
	v_sub_f32_e32 v15, v15, v21
	v_sub_f32_e32 v13, v13, v14
	v_dual_sub_f32 v12, v12, v14 :: v_dual_mul_f32 v17, 0x3fb8aa3b, v13
	s_delay_alu instid0(VALU_DEP_1) | instskip(SKIP_1) | instid1(VALU_DEP_3)
	v_mul_f32_e32 v16, 0x3fb8aa3b, v12
	v_fmac_f32_e32 v20, 0x32a5705f, v11
	v_rndne_f32_e32 v25, v17
	v_sub_f32_e32 v10, v10, v14
	v_fma_f32 v24, 0x3fb8aa3b, v13, -v17
	s_delay_alu instid0(VALU_DEP_4) | instskip(SKIP_1) | instid1(VALU_DEP_4)
	v_add_f32_e32 v15, v15, v20
	v_fma_f32 v22, 0x3fb8aa3b, v12, -v16
	v_dual_sub_f32 v17, v17, v25 :: v_dual_mul_f32 v14, 0x3fb8aa3b, v10
	v_rndne_f32_e32 v23, v16
	s_delay_alu instid0(VALU_DEP_4)
	v_exp_f32_e32 v15, v15
	v_cmp_ngt_f32_e32 vcc_lo, 0xc2ce8ed0, v10
	v_fmac_f32_e32 v22, 0x32a5705f, v12
	v_fma_f32 v18, 0x3fb8aa3b, v10, -v14
	v_rndne_f32_e32 v19, v14
	v_sub_f32_e32 v16, v16, v23
	v_cvt_i32_f32_e32 v20, v23
	s_delay_alu instid0(VALU_DEP_4) | instskip(NEXT) | instid1(VALU_DEP_4)
	v_fmac_f32_e32 v18, 0x32a5705f, v10
	v_sub_f32_e32 v14, v14, v19
	v_fmac_f32_e32 v24, 0x32a5705f, v13
	s_delay_alu instid0(VALU_DEP_2) | instskip(SKIP_2) | instid1(VALU_DEP_4)
	v_add_f32_e32 v14, v14, v18
	v_cvt_i32_f32_e32 v18, v19
	v_cvt_i32_f32_e32 v19, v21
	v_add_f32_e32 v17, v17, v24
	v_cvt_i32_f32_e32 v21, v25
	v_exp_f32_e32 v14, v14
	s_delay_alu instid0(VALU_DEP_3) | instskip(NEXT) | instid1(VALU_DEP_3)
	v_ldexp_f32 v15, v15, v19
	v_exp_f32_e32 v17, v17
	s_waitcnt_depctr 0xfff
	v_ldexp_f32 v14, v14, v18
	v_ldexp_f32 v17, v17, v21
	s_delay_alu instid0(VALU_DEP_2) | instskip(SKIP_3) | instid1(VALU_DEP_2)
	v_cndmask_b32_e32 v14, 0, v14, vcc_lo
	v_cmp_ngt_f32_e32 vcc_lo, 0xc2ce8ed0, v11
	v_dual_cndmask_b32 v15, 0, v15 :: v_dual_add_f32 v16, v16, v22
	v_cmp_ngt_f32_e32 vcc_lo, 0xc2ce8ed0, v12
	v_exp_f32_e32 v16, v16
	s_waitcnt_depctr 0xfff
	v_ldexp_f32 v16, v16, v20
	s_delay_alu instid0(VALU_DEP_1)
	v_cndmask_b32_e32 v16, 0, v16, vcc_lo
	v_cmp_nlt_f32_e32 vcc_lo, 0x42b17218, v10
	v_cndmask_b32_e32 v10, 0x7f800000, v14, vcc_lo
	v_cmp_nlt_f32_e32 vcc_lo, 0x42b17218, v11
	v_cndmask_b32_e32 v11, 0x7f800000, v15, vcc_lo
	v_cmp_ngt_f32_e32 vcc_lo, 0xc2ce8ed0, v13
	s_delay_alu instid0(VALU_DEP_2) | instskip(SKIP_3) | instid1(VALU_DEP_2)
	v_dual_add_f32 v15, v10, v11 :: v_dual_cndmask_b32 v14, 0, v17
	v_cmp_nlt_f32_e32 vcc_lo, 0x42b17218, v12
	v_cndmask_b32_e32 v12, 0x7f800000, v16, vcc_lo
	v_cmp_nlt_f32_e32 vcc_lo, 0x42b17218, v13
	v_dual_cndmask_b32 v13, 0x7f800000, v14 :: v_dual_add_f32 v14, v15, v12
	s_delay_alu instid0(VALU_DEP_1)
	v_add_f32_e32 v14, v14, v13
	ds_bpermute_b32 v15, v3, v14
	s_waitcnt lgkmcnt(0)
	v_add_f32_e32 v14, v14, v15
	ds_bpermute_b32 v15, v4, v14
	s_waitcnt lgkmcnt(0)
	;; [unrolled: 3-line block ×5, first 2 shown]
	v_add_f32_e32 v14, v14, v15
	s_delay_alu instid0(VALU_DEP_1) | instskip(SKIP_1) | instid1(VALU_DEP_2)
	v_div_scale_f32 v15, null, v14, v14, 1.0
	v_div_scale_f32 v18, vcc_lo, 1.0, v14, 1.0
	v_rcp_f32_e32 v16, v15
	s_waitcnt_depctr 0xfff
	v_fma_f32 v17, -v15, v16, 1.0
	s_delay_alu instid0(VALU_DEP_1) | instskip(NEXT) | instid1(VALU_DEP_1)
	v_fmac_f32_e32 v16, v17, v16
	v_mul_f32_e32 v17, v18, v16
	s_delay_alu instid0(VALU_DEP_1) | instskip(NEXT) | instid1(VALU_DEP_1)
	v_fma_f32 v19, -v15, v17, v18
	v_fmac_f32_e32 v17, v19, v16
	s_delay_alu instid0(VALU_DEP_1) | instskip(NEXT) | instid1(VALU_DEP_1)
	v_fma_f32 v15, -v15, v17, v18
	v_div_fmas_f32 v15, v15, v16, v17
	s_delay_alu instid0(VALU_DEP_1) | instskip(NEXT) | instid1(VALU_DEP_1)
	v_div_fixup_f32 v14, v15, v14, 1.0
	v_mul_f32_e32 v9, v14, v11
	v_mul_f32_e32 v11, v14, v13
	;; [unrolled: 1-line block ×4, first 2 shown]
	ds_store_b128 v0, v[8:11]
	s_cbranch_scc1 .LBB39_30
; %bb.4:
	s_load_b128 s[8:11], s[2:3], 0x20
	v_mul_lo_u32 v8, v1, s4
	v_dual_mov_b32 v10, 0xc61c4000 :: v_dual_lshlrev_b32 v9, 2, v2
	v_cmp_eq_u32_e32 vcc_lo, 0, v2
	s_branch .LBB39_6
.LBB39_5:                               ;   in Loop: Header=BB39_6 Depth=1
	s_or_b32 exec_lo, exec_lo, s0
	v_add_nc_u32_e32 v1, s14, v1
	s_cmp_lg_u32 s4, s7
	s_cbranch_scc0 .LBB39_30
.LBB39_6:                               ; =>This Inner Loop Header: Depth=1
	ds_load_b128 v[11:14], v0
	s_mov_b32 s3, exec_lo
	s_waitcnt lgkmcnt(0)
	v_cmp_gt_f32_e64 s0, v12, v11
	s_delay_alu instid0(VALU_DEP_1) | instskip(SKIP_1) | instid1(VALU_DEP_2)
	v_cndmask_b32_e64 v11, v11, v12, s0
	v_cndmask_b32_e64 v12, 0, 1, s0
	v_cmp_gt_f32_e64 s0, v13, v11
	s_delay_alu instid0(VALU_DEP_1) | instskip(NEXT) | instid1(VALU_DEP_3)
	v_cndmask_b32_e64 v11, v11, v13, s0
	v_cndmask_b32_e64 v13, v12, 2, s0
	s_delay_alu instid0(VALU_DEP_2) | instskip(NEXT) | instid1(VALU_DEP_1)
	v_cmp_gt_f32_e64 s0, v14, v11
	v_cndmask_b32_e64 v12, v11, v14, s0
	s_delay_alu instid0(VALU_DEP_3)
	v_cndmask_b32_e64 v11, v13, 3, s0
	ds_bpermute_b32 v13, v3, v12
	v_or_b32_e32 v11, v9, v11
	ds_bpermute_b32 v14, v3, v11
	s_waitcnt lgkmcnt(1)
	v_cmp_lt_f32_e64 s2, v12, v13
	v_cmpx_nlt_f32_e32 v12, v13
	s_cbranch_execz .LBB39_8
; %bb.7:                                ;   in Loop: Header=BB39_6 Depth=1
	v_cmp_eq_f32_e64 s0, v12, v13
	s_waitcnt lgkmcnt(0)
	v_cmp_lt_i32_e64 s1, v14, v11
	s_delay_alu instid0(VALU_DEP_1) | instskip(SKIP_2) | instid1(SALU_CYCLE_1)
	s_and_b32 s0, s0, s1
	s_and_not1_b32 s1, s2, exec_lo
	s_and_b32 s0, s0, exec_lo
	s_or_b32 s2, s1, s0
.LBB39_8:                               ;   in Loop: Header=BB39_6 Depth=1
	s_or_b32 exec_lo, exec_lo, s3
	s_delay_alu instid0(VALU_DEP_2)
	s_and_saveexec_b32 s0, s2
	s_cbranch_execz .LBB39_10
; %bb.9:                                ;   in Loop: Header=BB39_6 Depth=1
	s_waitcnt lgkmcnt(0)
	v_dual_mov_b32 v12, v13 :: v_dual_mov_b32 v11, v14
.LBB39_10:                              ;   in Loop: Header=BB39_6 Depth=1
	s_or_b32 exec_lo, exec_lo, s0
	s_waitcnt lgkmcnt(0)
	ds_bpermute_b32 v14, v4, v12
	ds_bpermute_b32 v13, v4, v11
	s_mov_b32 s3, exec_lo
	s_waitcnt lgkmcnt(1)
	v_cmp_lt_f32_e64 s2, v12, v14
	v_cmpx_nlt_f32_e32 v12, v14
	s_cbranch_execz .LBB39_12
; %bb.11:                               ;   in Loop: Header=BB39_6 Depth=1
	v_cmp_eq_f32_e64 s0, v12, v14
	s_waitcnt lgkmcnt(0)
	v_cmp_lt_i32_e64 s1, v13, v11
	s_delay_alu instid0(VALU_DEP_1) | instskip(SKIP_2) | instid1(SALU_CYCLE_1)
	s_and_b32 s0, s0, s1
	s_and_not1_b32 s1, s2, exec_lo
	s_and_b32 s0, s0, exec_lo
	s_or_b32 s2, s1, s0
.LBB39_12:                              ;   in Loop: Header=BB39_6 Depth=1
	s_or_b32 exec_lo, exec_lo, s3
	s_delay_alu instid0(VALU_DEP_2)
	s_and_saveexec_b32 s0, s2
	s_cbranch_execz .LBB39_14
; %bb.13:                               ;   in Loop: Header=BB39_6 Depth=1
	s_waitcnt lgkmcnt(0)
	v_dual_mov_b32 v12, v14 :: v_dual_mov_b32 v11, v13
.LBB39_14:                              ;   in Loop: Header=BB39_6 Depth=1
	s_or_b32 exec_lo, exec_lo, s0
	ds_bpermute_b32 v14, v5, v12
	s_waitcnt lgkmcnt(1)
	ds_bpermute_b32 v13, v5, v11
	s_mov_b32 s3, exec_lo
	s_waitcnt lgkmcnt(1)
	v_cmp_lt_f32_e64 s2, v12, v14
	v_cmpx_nlt_f32_e32 v12, v14
	s_cbranch_execz .LBB39_16
; %bb.15:                               ;   in Loop: Header=BB39_6 Depth=1
	v_cmp_eq_f32_e64 s0, v12, v14
	s_waitcnt lgkmcnt(0)
	v_cmp_lt_i32_e64 s1, v13, v11
	s_delay_alu instid0(VALU_DEP_1) | instskip(SKIP_2) | instid1(SALU_CYCLE_1)
	s_and_b32 s0, s0, s1
	s_and_not1_b32 s1, s2, exec_lo
	s_and_b32 s0, s0, exec_lo
	s_or_b32 s2, s1, s0
.LBB39_16:                              ;   in Loop: Header=BB39_6 Depth=1
	s_or_b32 exec_lo, exec_lo, s3
	s_delay_alu instid0(VALU_DEP_2)
	s_and_saveexec_b32 s0, s2
	s_cbranch_execz .LBB39_18
; %bb.17:                               ;   in Loop: Header=BB39_6 Depth=1
	s_waitcnt lgkmcnt(0)
	v_dual_mov_b32 v12, v14 :: v_dual_mov_b32 v11, v13
.LBB39_18:                              ;   in Loop: Header=BB39_6 Depth=1
	s_or_b32 exec_lo, exec_lo, s0
	ds_bpermute_b32 v14, v6, v12
	s_waitcnt lgkmcnt(1)
	ds_bpermute_b32 v13, v6, v11
	s_mov_b32 s3, exec_lo
	s_waitcnt lgkmcnt(1)
	v_cmp_lt_f32_e64 s2, v12, v14
	v_cmpx_nlt_f32_e32 v12, v14
	s_cbranch_execz .LBB39_20
; %bb.19:                               ;   in Loop: Header=BB39_6 Depth=1
	v_cmp_eq_f32_e64 s0, v12, v14
	s_waitcnt lgkmcnt(0)
	v_cmp_lt_i32_e64 s1, v13, v11
	s_delay_alu instid0(VALU_DEP_1) | instskip(SKIP_2) | instid1(SALU_CYCLE_1)
	s_and_b32 s0, s0, s1
	s_and_not1_b32 s1, s2, exec_lo
	s_and_b32 s0, s0, exec_lo
	s_or_b32 s2, s1, s0
.LBB39_20:                              ;   in Loop: Header=BB39_6 Depth=1
	s_or_b32 exec_lo, exec_lo, s3
	s_delay_alu instid0(VALU_DEP_2)
	s_and_saveexec_b32 s0, s2
	s_cbranch_execz .LBB39_22
; %bb.21:                               ;   in Loop: Header=BB39_6 Depth=1
	s_waitcnt lgkmcnt(0)
	v_dual_mov_b32 v12, v14 :: v_dual_mov_b32 v11, v13
.LBB39_22:                              ;   in Loop: Header=BB39_6 Depth=1
	s_or_b32 exec_lo, exec_lo, s0
	s_waitcnt lgkmcnt(0)
	ds_bpermute_b32 v13, v7, v12
	ds_bpermute_b32 v14, v7, v11
	s_mov_b32 s3, exec_lo
	s_waitcnt lgkmcnt(1)
	v_cmp_lt_f32_e64 s2, v12, v13
	v_cmpx_nlt_f32_e32 v12, v13
	s_cbranch_execnz .LBB39_28
; %bb.23:                               ;   in Loop: Header=BB39_6 Depth=1
	s_or_b32 exec_lo, exec_lo, s3
	s_delay_alu instid0(VALU_DEP_2)
	s_and_saveexec_b32 s0, s2
	s_cbranch_execnz .LBB39_29
.LBB39_24:                              ;   in Loop: Header=BB39_6 Depth=1
	s_or_b32 exec_lo, exec_lo, s0
	s_and_saveexec_b32 s2, vcc_lo
	s_cbranch_execz .LBB39_26
.LBB39_25:                              ;   in Loop: Header=BB39_6 Depth=1
	v_add_nc_u32_e32 v13, s7, v8
	v_cmp_le_i32_e64 s0, s5, v11
	v_cmp_gt_i32_e64 s1, s6, v11
	v_subrev_nc_u32_e32 v15, s5, v11
	s_waitcnt lgkmcnt(0)
	v_ashrrev_i32_e32 v14, 31, v13
	s_delay_alu instid0(VALU_DEP_3) | instskip(NEXT) | instid1(SALU_CYCLE_1)
	s_and_b32 s0, s0, s1
	s_and_b32 s0, s15, s0
	s_delay_alu instid0(VALU_DEP_1) | instskip(SKIP_1) | instid1(VALU_DEP_2)
	v_lshlrev_b64 v[13:14], 2, v[13:14]
	v_cndmask_b32_e64 v19, 0x80, v15, s0
	v_add_co_u32 v15, s0, s12, v13
	s_delay_alu instid0(VALU_DEP_1) | instskip(SKIP_1) | instid1(VALU_DEP_1)
	v_add_co_ci_u32_e64 v16, s0, s13, v14, s0
	v_add_co_u32 v17, s0, s8, v13
	v_add_co_ci_u32_e64 v18, s0, s9, v14, s0
	v_add_co_u32 v13, s0, s10, v13
	s_delay_alu instid0(VALU_DEP_1)
	v_add_co_ci_u32_e64 v14, s0, s11, v14, s0
	global_store_b32 v[15:16], v12, off
	global_store_b32 v[17:18], v19, off
	;; [unrolled: 1-line block ×3, first 2 shown]
.LBB39_26:                              ;   in Loop: Header=BB39_6 Depth=1
	s_or_b32 exec_lo, exec_lo, s2
	v_ashrrev_i32_e32 v12, 31, v11
	s_add_i32 s7, s7, 1
	s_delay_alu instid0(SALU_CYCLE_1) | instskip(SKIP_1) | instid1(VALU_DEP_1)
	s_cmp_lt_i32 s7, s4
	s_cselect_b32 s1, -1, 0
	v_lshrrev_b32_e32 v13, 30, v12
	s_delay_alu instid0(VALU_DEP_1) | instskip(SKIP_1) | instid1(VALU_DEP_1)
	v_add_nc_u32_e32 v13, v11, v13
	s_waitcnt lgkmcnt(0)
	v_ashrrev_i32_e32 v14, 31, v13
	v_ashrrev_i32_e32 v13, 2, v13
	s_delay_alu instid0(VALU_DEP_2) | instskip(NEXT) | instid1(VALU_DEP_1)
	v_lshrrev_b32_e32 v14, 27, v14
	v_add_nc_u32_e32 v14, v13, v14
	s_delay_alu instid0(VALU_DEP_1) | instskip(NEXT) | instid1(VALU_DEP_1)
	v_and_b32_e32 v14, 0xffffffe0, v14
	v_sub_nc_u32_e32 v14, v13, v14
	s_delay_alu instid0(VALU_DEP_1) | instskip(NEXT) | instid1(VALU_DEP_1)
	v_cmp_eq_u32_e64 s0, v2, v14
	s_and_b32 s1, s1, s0
	s_delay_alu instid0(SALU_CYCLE_1)
	s_and_saveexec_b32 s0, s1
	s_cbranch_execz .LBB39_5
; %bb.27:                               ;   in Loop: Header=BB39_6 Depth=1
	v_lshrrev_b32_e32 v12, 25, v12
	v_lshlrev_b32_e32 v13, 2, v13
	s_delay_alu instid0(VALU_DEP_2) | instskip(NEXT) | instid1(VALU_DEP_2)
	v_add_nc_u32_e32 v12, v11, v12
	v_sub_nc_u32_e32 v11, v11, v13
	s_delay_alu instid0(VALU_DEP_2) | instskip(NEXT) | instid1(VALU_DEP_1)
	v_ashrrev_i32_e32 v12, 7, v12
	v_lshl_add_u32 v11, v12, 2, v11
	s_delay_alu instid0(VALU_DEP_1)
	v_lshl_add_u32 v11, v11, 2, v0
	ds_store_b32 v11, v10
	s_branch .LBB39_5
.LBB39_28:                              ;   in Loop: Header=BB39_6 Depth=1
	v_cmp_eq_f32_e64 s0, v12, v13
	s_waitcnt lgkmcnt(0)
	v_cmp_lt_i32_e64 s1, v14, v11
	s_delay_alu instid0(VALU_DEP_1) | instskip(SKIP_2) | instid1(SALU_CYCLE_1)
	s_and_b32 s0, s0, s1
	s_and_not1_b32 s1, s2, exec_lo
	s_and_b32 s0, s0, exec_lo
	s_or_b32 s2, s1, s0
	s_or_b32 exec_lo, exec_lo, s3
	s_and_saveexec_b32 s0, s2
	s_cbranch_execz .LBB39_24
.LBB39_29:                              ;   in Loop: Header=BB39_6 Depth=1
	s_waitcnt lgkmcnt(0)
	v_dual_mov_b32 v12, v13 :: v_dual_mov_b32 v11, v14
	s_or_b32 exec_lo, exec_lo, s0
	s_and_saveexec_b32 s2, vcc_lo
	s_cbranch_execnz .LBB39_25
	s_branch .LBB39_26
.LBB39_30:
	s_nop 0
	s_sendmsg sendmsg(MSG_DEALLOC_VGPRS)
	s_endpgm
	.section	.rodata,"a",@progbits
	.p2align	6, 0x0
	.amdhsa_kernel _ZN4vllm3moe17topkGatingSoftmaxILi4ELi128ELi4ELi16ELi32EjEEvPKfPKbPfiPT4_Piiii
		.amdhsa_group_segment_fixed_size 2048
		.amdhsa_private_segment_fixed_size 0
		.amdhsa_kernarg_size 60
		.amdhsa_user_sgpr_count 15
		.amdhsa_user_sgpr_dispatch_ptr 1
		.amdhsa_user_sgpr_queue_ptr 0
		.amdhsa_user_sgpr_kernarg_segment_ptr 1
		.amdhsa_user_sgpr_dispatch_id 0
		.amdhsa_user_sgpr_private_segment_size 0
		.amdhsa_wavefront_size32 1
		.amdhsa_uses_dynamic_stack 0
		.amdhsa_enable_private_segment 0
		.amdhsa_system_sgpr_workgroup_id_x 1
		.amdhsa_system_sgpr_workgroup_id_y 0
		.amdhsa_system_sgpr_workgroup_id_z 0
		.amdhsa_system_sgpr_workgroup_info 0
		.amdhsa_system_vgpr_workitem_id 2
		.amdhsa_next_free_vgpr 26
		.amdhsa_next_free_sgpr 16
		.amdhsa_reserve_vcc 1
		.amdhsa_float_round_mode_32 0
		.amdhsa_float_round_mode_16_64 0
		.amdhsa_float_denorm_mode_32 3
		.amdhsa_float_denorm_mode_16_64 3
		.amdhsa_dx10_clamp 1
		.amdhsa_ieee_mode 1
		.amdhsa_fp16_overflow 0
		.amdhsa_workgroup_processor_mode 1
		.amdhsa_memory_ordered 1
		.amdhsa_forward_progress 0
		.amdhsa_shared_vgpr_count 0
		.amdhsa_exception_fp_ieee_invalid_op 0
		.amdhsa_exception_fp_denorm_src 0
		.amdhsa_exception_fp_ieee_div_zero 0
		.amdhsa_exception_fp_ieee_overflow 0
		.amdhsa_exception_fp_ieee_underflow 0
		.amdhsa_exception_fp_ieee_inexact 0
		.amdhsa_exception_int_div_zero 0
	.end_amdhsa_kernel
	.section	.text._ZN4vllm3moe17topkGatingSoftmaxILi4ELi128ELi4ELi16ELi32EjEEvPKfPKbPfiPT4_Piiii,"axG",@progbits,_ZN4vllm3moe17topkGatingSoftmaxILi4ELi128ELi4ELi16ELi32EjEEvPKfPKbPfiPT4_Piiii,comdat
.Lfunc_end39:
	.size	_ZN4vllm3moe17topkGatingSoftmaxILi4ELi128ELi4ELi16ELi32EjEEvPKfPKbPfiPT4_Piiii, .Lfunc_end39-_ZN4vllm3moe17topkGatingSoftmaxILi4ELi128ELi4ELi16ELi32EjEEvPKfPKbPfiPT4_Piiii
                                        ; -- End function
	.section	.AMDGPU.csdata,"",@progbits
; Kernel info:
; codeLenInByte = 2248
; NumSgprs: 18
; NumVgprs: 26
; ScratchSize: 0
; MemoryBound: 0
; FloatMode: 240
; IeeeMode: 1
; LDSByteSize: 2048 bytes/workgroup (compile time only)
; SGPRBlocks: 2
; VGPRBlocks: 3
; NumSGPRsForWavesPerEU: 18
; NumVGPRsForWavesPerEU: 26
; Occupancy: 16
; WaveLimiterHint : 0
; COMPUTE_PGM_RSRC2:SCRATCH_EN: 0
; COMPUTE_PGM_RSRC2:USER_SGPR: 15
; COMPUTE_PGM_RSRC2:TRAP_HANDLER: 0
; COMPUTE_PGM_RSRC2:TGID_X_EN: 1
; COMPUTE_PGM_RSRC2:TGID_Y_EN: 0
; COMPUTE_PGM_RSRC2:TGID_Z_EN: 0
; COMPUTE_PGM_RSRC2:TIDIG_COMP_CNT: 2
	.section	.text._ZN4vllm3moe17topkGatingSoftmaxILi4ELi256ELi4ELi16ELi64EjEEvPKfPKbPfiPT4_Piiii,"axG",@progbits,_ZN4vllm3moe17topkGatingSoftmaxILi4ELi256ELi4ELi16ELi64EjEEvPKfPKbPfiPT4_Piiii,comdat
	.protected	_ZN4vllm3moe17topkGatingSoftmaxILi4ELi256ELi4ELi16ELi64EjEEvPKfPKbPfiPT4_Piiii ; -- Begin function _ZN4vllm3moe17topkGatingSoftmaxILi4ELi256ELi4ELi16ELi64EjEEvPKfPKbPfiPT4_Piiii
	.globl	_ZN4vllm3moe17topkGatingSoftmaxILi4ELi256ELi4ELi16ELi64EjEEvPKfPKbPfiPT4_Piiii
	.p2align	8
	.type	_ZN4vllm3moe17topkGatingSoftmaxILi4ELi256ELi4ELi16ELi64EjEEvPKfPKbPfiPT4_Piiii,@function
_ZN4vllm3moe17topkGatingSoftmaxILi4ELi256ELi4ELi16ELi64EjEEvPKfPKbPfiPT4_Piiii: ; @_ZN4vllm3moe17topkGatingSoftmaxILi4ELi256ELi4ELi16ELi64EjEEvPKfPKbPfiPT4_Piiii
; %bb.0:
	s_load_b32 s14, s[2:3], 0x18
	v_and_b32_e32 v10, 0x3ff, v0
	v_bfe_u32 v9, v0, 10, 10
	s_lshl_b32 s4, s15, 2
	s_delay_alu instid0(VALU_DEP_2) | instskip(NEXT) | instid1(VALU_DEP_1)
	v_lshrrev_b32_e32 v1, 6, v10
	v_add3_u32 v1, s4, v9, v1
	s_mov_b32 s4, exec_lo
	s_waitcnt lgkmcnt(0)
	s_delay_alu instid0(VALU_DEP_1)
	v_cmpx_gt_i32_e64 s14, v1
	s_cbranch_execz .LBB40_34
; %bb.1:
	s_clause 0x1
	s_load_b128 s[4:7], s[2:3], 0x0
	s_load_b64 s[12:13], s[2:3], 0x10
	s_mov_b32 s15, -1
	s_waitcnt lgkmcnt(0)
	s_cmp_eq_u64 s[6:7], 0
	s_cbranch_scc1 .LBB40_3
; %bb.2:
	v_ashrrev_i32_e32 v3, 31, v1
	v_add_co_u32 v2, vcc_lo, s6, v1
	s_delay_alu instid0(VALU_DEP_2) | instskip(SKIP_3) | instid1(VALU_DEP_1)
	v_add_co_ci_u32_e32 v3, vcc_lo, s7, v3, vcc_lo
	global_load_u8 v2, v[2:3], off
	s_waitcnt vmcnt(0)
	v_and_b32_e32 v2, 1, v2
	v_cmp_eq_u32_e32 vcc_lo, 1, v2
	s_xor_b32 s6, vcc_lo, -1
	s_delay_alu instid0(SALU_CYCLE_1)
	s_or_not1_b32 s15, s6, exec_lo
.LBB40_3:
	v_lshlrev_b32_e32 v3, 8, v1
	v_and_b32_e32 v2, 63, v10
	v_mbcnt_lo_u32_b32 v8, -1, 0
	s_load_b64 s[0:1], s[0:1], 0x4
	v_bfe_u32 v0, v0, 20, 10
	v_ashrrev_i32_e32 v4, 31, v3
	v_lshlrev_b32_e32 v5, 4, v2
	v_xor_b32_e32 v6, 16, v8
	s_delay_alu instid0(VALU_DEP_3) | instskip(NEXT) | instid1(VALU_DEP_1)
	v_lshlrev_b64 v[3:4], 2, v[3:4]
	v_add_co_u32 v3, vcc_lo, s4, v3
	s_delay_alu instid0(VALU_DEP_2) | instskip(SKIP_1) | instid1(VALU_DEP_2)
	v_add_co_ci_u32_e32 v4, vcc_lo, s5, v4, vcc_lo
	s_load_b128 s[4:7], s[2:3], 0x30
	v_add_co_u32 v3, vcc_lo, v3, v5
	s_delay_alu instid0(VALU_DEP_2)
	v_add_co_ci_u32_e32 v4, vcc_lo, 0, v4, vcc_lo
	s_waitcnt lgkmcnt(0)
	s_lshr_b32 s0, s0, 16
	s_mov_b32 s7, 0
	s_mul_i32 s0, s0, s1
	global_load_b128 v[11:14], v[3:4], off
	v_or_b32_e32 v3, 32, v8
	v_mul_lo_u32 v10, s0, v10
	s_delay_alu instid0(VALU_DEP_2) | instskip(NEXT) | instid1(VALU_DEP_2)
	v_cmp_gt_i32_e32 vcc_lo, 64, v3
	v_mad_u32_u24 v9, v9, s1, v10
	s_cmp_lt_i32 s4, 1
	s_delay_alu instid0(VALU_DEP_1) | instskip(SKIP_4) | instid1(VALU_DEP_2)
	v_add_lshl_u32 v0, v9, v0, 4
	s_waitcnt vmcnt(0)
	v_dual_max_f32 v4, v12, v12 :: v_dual_max_f32 v5, v11, v11
	v_cndmask_b32_e32 v3, v8, v3, vcc_lo
	v_cmp_gt_i32_e32 vcc_lo, 64, v6
	v_dual_max_f32 v4, v5, v4 :: v_dual_lshlrev_b32 v3, 2, v3
	v_cndmask_b32_e32 v6, v8, v6, vcc_lo
	s_delay_alu instid0(VALU_DEP_2) | instskip(SKIP_3) | instid1(VALU_DEP_1)
	v_max3_f32 v5, v4, v13, v14
	ds_bpermute_b32 v4, v3, v5
	s_waitcnt lgkmcnt(0)
	v_dual_max_f32 v7, v4, v4 :: v_dual_lshlrev_b32 v4, 2, v6
	v_max_f32_e32 v6, v5, v7
	v_xor_b32_e32 v7, 8, v8
	ds_bpermute_b32 v5, v4, v6
	v_cmp_gt_i32_e32 vcc_lo, 64, v7
	v_cndmask_b32_e32 v7, v8, v7, vcc_lo
	s_waitcnt lgkmcnt(0)
	v_max_f32_e32 v15, v5, v5
	s_delay_alu instid0(VALU_DEP_2) | instskip(NEXT) | instid1(VALU_DEP_2)
	v_lshlrev_b32_e32 v5, 2, v7
	v_max_f32_e32 v7, v6, v15
	v_xor_b32_e32 v15, 4, v8
	ds_bpermute_b32 v6, v5, v7
	v_cmp_gt_i32_e32 vcc_lo, 64, v15
	s_waitcnt lgkmcnt(0)
	v_dual_cndmask_b32 v15, v8, v15 :: v_dual_max_f32 v16, v6, v6
	s_delay_alu instid0(VALU_DEP_1)
	v_dual_max_f32 v15, v7, v16 :: v_dual_lshlrev_b32 v6, 2, v15
	v_xor_b32_e32 v16, 2, v8
	ds_bpermute_b32 v7, v6, v15
	v_cmp_gt_i32_e32 vcc_lo, 64, v16
	s_waitcnt lgkmcnt(0)
	v_dual_cndmask_b32 v16, v8, v16 :: v_dual_max_f32 v17, v7, v7
	s_delay_alu instid0(VALU_DEP_1) | instskip(NEXT) | instid1(VALU_DEP_2)
	v_lshlrev_b32_e32 v7, 2, v16
	v_max_f32_e32 v15, v15, v17
	v_xor_b32_e32 v17, 1, v8
	ds_bpermute_b32 v16, v7, v15
	v_cmp_gt_i32_e32 vcc_lo, 64, v17
	v_cndmask_b32_e32 v8, v8, v17, vcc_lo
	s_delay_alu instid0(VALU_DEP_1) | instskip(SKIP_2) | instid1(VALU_DEP_1)
	v_lshlrev_b32_e32 v8, 2, v8
	s_waitcnt lgkmcnt(0)
	v_max_f32_e32 v16, v16, v16
	v_max_f32_e32 v15, v15, v16
	ds_bpermute_b32 v16, v8, v15
	s_waitcnt lgkmcnt(0)
	v_max_f32_e32 v16, v16, v16
	s_delay_alu instid0(VALU_DEP_1) | instskip(NEXT) | instid1(VALU_DEP_1)
	v_max_f32_e32 v15, v15, v16
	v_sub_f32_e32 v12, v12, v15
	s_delay_alu instid0(VALU_DEP_1) | instskip(NEXT) | instid1(VALU_DEP_1)
	v_mul_f32_e32 v16, 0x3fb8aa3b, v12
	v_fma_f32 v21, 0x3fb8aa3b, v12, -v16
	v_rndne_f32_e32 v22, v16
	s_delay_alu instid0(VALU_DEP_1) | instskip(NEXT) | instid1(VALU_DEP_1)
	v_dual_fmac_f32 v21, 0x32a5705f, v12 :: v_dual_sub_f32 v16, v16, v22
	v_dual_sub_f32 v13, v13, v15 :: v_dual_add_f32 v16, v16, v21
	s_delay_alu instid0(VALU_DEP_1) | instskip(NEXT) | instid1(VALU_DEP_2)
	v_dual_sub_f32 v14, v14, v15 :: v_dual_mul_f32 v17, 0x3fb8aa3b, v13
	v_exp_f32_e32 v16, v16
	s_delay_alu instid0(VALU_DEP_1) | instskip(NEXT) | instid1(VALU_DEP_2)
	v_mul_f32_e32 v18, 0x3fb8aa3b, v14
	v_fma_f32 v23, 0x3fb8aa3b, v13, -v17
	v_rndne_f32_e32 v24, v17
	s_delay_alu instid0(VALU_DEP_3)
	v_fma_f32 v25, 0x3fb8aa3b, v14, -v18
	v_rndne_f32_e32 v26, v18
	v_sub_f32_e32 v11, v11, v15
	v_fmac_f32_e32 v23, 0x32a5705f, v13
	v_sub_f32_e32 v17, v17, v24
	v_fmac_f32_e32 v25, 0x32a5705f, v14
	s_delay_alu instid0(VALU_DEP_4) | instskip(SKIP_1) | instid1(VALU_DEP_4)
	v_dual_sub_f32 v18, v18, v26 :: v_dual_mul_f32 v15, 0x3fb8aa3b, v11
	v_cmp_ngt_f32_e32 vcc_lo, 0xc2ce8ed0, v11
	v_add_f32_e32 v17, v17, v23
	v_cvt_i32_f32_e32 v21, v24
	s_delay_alu instid0(VALU_DEP_4) | instskip(SKIP_3) | instid1(VALU_DEP_3)
	v_add_f32_e32 v18, v18, v25
	v_fma_f32 v19, 0x3fb8aa3b, v11, -v15
	v_rndne_f32_e32 v20, v15
	v_exp_f32_e32 v17, v17
	v_exp_f32_e32 v18, v18
	s_delay_alu instid0(VALU_DEP_2) | instskip(NEXT) | instid1(VALU_DEP_2)
	v_fmac_f32_e32 v19, 0x32a5705f, v11
	v_sub_f32_e32 v15, v15, v20
	s_delay_alu instid0(VALU_DEP_1) | instskip(SKIP_2) | instid1(TRANS32_DEP_2)
	v_add_f32_e32 v15, v15, v19
	v_cvt_i32_f32_e32 v19, v20
	v_cvt_i32_f32_e32 v20, v22
	v_ldexp_f32 v17, v17, v21
	v_cvt_i32_f32_e32 v22, v26
	v_exp_f32_e32 v15, v15
	s_delay_alu instid0(VALU_DEP_3) | instskip(NEXT) | instid1(VALU_DEP_2)
	v_ldexp_f32 v16, v16, v20
	v_ldexp_f32 v18, v18, v22
	s_waitcnt_depctr 0xfff
	v_ldexp_f32 v15, v15, v19
	s_delay_alu instid0(VALU_DEP_1)
	v_cndmask_b32_e32 v15, 0, v15, vcc_lo
	v_cmp_ngt_f32_e32 vcc_lo, 0xc2ce8ed0, v12
	v_cndmask_b32_e32 v16, 0, v16, vcc_lo
	v_cmp_ngt_f32_e32 vcc_lo, 0xc2ce8ed0, v13
	v_cndmask_b32_e32 v17, 0, v17, vcc_lo
	v_cmp_nlt_f32_e32 vcc_lo, 0x42b17218, v11
	v_cndmask_b32_e32 v11, 0x7f800000, v15, vcc_lo
	v_cmp_nlt_f32_e32 vcc_lo, 0x42b17218, v12
	v_cndmask_b32_e32 v12, 0x7f800000, v16, vcc_lo
	v_cmp_ngt_f32_e32 vcc_lo, 0xc2ce8ed0, v14
	s_delay_alu instid0(VALU_DEP_2) | instskip(SKIP_3) | instid1(VALU_DEP_2)
	v_dual_add_f32 v16, v11, v12 :: v_dual_cndmask_b32 v15, 0, v18
	v_cmp_nlt_f32_e32 vcc_lo, 0x42b17218, v13
	v_cndmask_b32_e32 v13, 0x7f800000, v17, vcc_lo
	v_cmp_nlt_f32_e32 vcc_lo, 0x42b17218, v14
	v_dual_cndmask_b32 v14, 0x7f800000, v15 :: v_dual_add_f32 v15, v16, v13
	s_delay_alu instid0(VALU_DEP_1)
	v_add_f32_e32 v15, v15, v14
	ds_bpermute_b32 v16, v3, v15
	s_waitcnt lgkmcnt(0)
	v_add_f32_e32 v15, v15, v16
	ds_bpermute_b32 v16, v4, v15
	s_waitcnt lgkmcnt(0)
	;; [unrolled: 3-line block ×6, first 2 shown]
	v_add_f32_e32 v15, v15, v16
	s_delay_alu instid0(VALU_DEP_1) | instskip(SKIP_1) | instid1(VALU_DEP_2)
	v_div_scale_f32 v16, null, v15, v15, 1.0
	v_div_scale_f32 v19, vcc_lo, 1.0, v15, 1.0
	v_rcp_f32_e32 v17, v16
	s_waitcnt_depctr 0xfff
	v_fma_f32 v18, -v16, v17, 1.0
	s_delay_alu instid0(VALU_DEP_1) | instskip(NEXT) | instid1(VALU_DEP_1)
	v_fmac_f32_e32 v17, v18, v17
	v_mul_f32_e32 v18, v19, v17
	s_delay_alu instid0(VALU_DEP_1) | instskip(NEXT) | instid1(VALU_DEP_1)
	v_fma_f32 v20, -v16, v18, v19
	v_fmac_f32_e32 v18, v20, v17
	s_delay_alu instid0(VALU_DEP_1) | instskip(NEXT) | instid1(VALU_DEP_1)
	v_fma_f32 v16, -v16, v18, v19
	v_div_fmas_f32 v16, v16, v17, v18
	s_delay_alu instid0(VALU_DEP_1) | instskip(NEXT) | instid1(VALU_DEP_1)
	v_div_fixup_f32 v15, v16, v15, 1.0
	v_mul_f32_e32 v9, v15, v11
	v_mul_f32_e32 v10, v15, v12
	;; [unrolled: 1-line block ×4, first 2 shown]
	ds_store_b128 v0, v[9:12]
	s_cbranch_scc1 .LBB40_34
; %bb.4:
	s_load_b128 s[8:11], s[2:3], 0x20
	v_mul_lo_u32 v9, v1, s4
	v_dual_mov_b32 v11, 0xc61c4000 :: v_dual_lshlrev_b32 v10, 2, v2
	v_cmp_eq_u32_e32 vcc_lo, 0, v2
	s_branch .LBB40_6
.LBB40_5:                               ;   in Loop: Header=BB40_6 Depth=1
	s_or_b32 exec_lo, exec_lo, s0
	v_add_nc_u32_e32 v1, s14, v1
	s_cmp_lg_u32 s4, s7
	s_cbranch_scc0 .LBB40_34
.LBB40_6:                               ; =>This Inner Loop Header: Depth=1
	ds_load_b128 v[12:15], v0
	s_mov_b32 s3, exec_lo
	s_waitcnt lgkmcnt(0)
	v_cmp_gt_f32_e64 s0, v13, v12
	s_delay_alu instid0(VALU_DEP_1) | instskip(SKIP_1) | instid1(VALU_DEP_2)
	v_cndmask_b32_e64 v12, v12, v13, s0
	v_cndmask_b32_e64 v13, 0, 1, s0
	v_cmp_gt_f32_e64 s0, v14, v12
	s_delay_alu instid0(VALU_DEP_1) | instskip(NEXT) | instid1(VALU_DEP_3)
	v_cndmask_b32_e64 v12, v12, v14, s0
	v_cndmask_b32_e64 v14, v13, 2, s0
	s_delay_alu instid0(VALU_DEP_2) | instskip(NEXT) | instid1(VALU_DEP_1)
	v_cmp_gt_f32_e64 s0, v15, v12
	v_cndmask_b32_e64 v13, v12, v15, s0
	s_delay_alu instid0(VALU_DEP_3)
	v_cndmask_b32_e64 v12, v14, 3, s0
	ds_bpermute_b32 v14, v3, v13
	v_or_b32_e32 v12, v10, v12
	ds_bpermute_b32 v15, v3, v12
	s_waitcnt lgkmcnt(1)
	v_cmp_lt_f32_e64 s2, v13, v14
	v_cmpx_nlt_f32_e32 v13, v14
	s_cbranch_execz .LBB40_8
; %bb.7:                                ;   in Loop: Header=BB40_6 Depth=1
	v_cmp_eq_f32_e64 s0, v13, v14
	s_waitcnt lgkmcnt(0)
	v_cmp_lt_i32_e64 s1, v15, v12
	s_delay_alu instid0(VALU_DEP_1) | instskip(SKIP_2) | instid1(SALU_CYCLE_1)
	s_and_b32 s0, s0, s1
	s_and_not1_b32 s1, s2, exec_lo
	s_and_b32 s0, s0, exec_lo
	s_or_b32 s2, s1, s0
.LBB40_8:                               ;   in Loop: Header=BB40_6 Depth=1
	s_or_b32 exec_lo, exec_lo, s3
	s_delay_alu instid0(VALU_DEP_2)
	s_and_saveexec_b32 s0, s2
	s_cbranch_execz .LBB40_10
; %bb.9:                                ;   in Loop: Header=BB40_6 Depth=1
	s_waitcnt lgkmcnt(0)
	v_dual_mov_b32 v13, v14 :: v_dual_mov_b32 v12, v15
.LBB40_10:                              ;   in Loop: Header=BB40_6 Depth=1
	s_or_b32 exec_lo, exec_lo, s0
	s_waitcnt lgkmcnt(0)
	ds_bpermute_b32 v15, v4, v13
	ds_bpermute_b32 v14, v4, v12
	s_mov_b32 s3, exec_lo
	s_waitcnt lgkmcnt(1)
	v_cmp_lt_f32_e64 s2, v13, v15
	v_cmpx_nlt_f32_e32 v13, v15
	s_cbranch_execz .LBB40_12
; %bb.11:                               ;   in Loop: Header=BB40_6 Depth=1
	v_cmp_eq_f32_e64 s0, v13, v15
	s_waitcnt lgkmcnt(0)
	v_cmp_lt_i32_e64 s1, v14, v12
	s_delay_alu instid0(VALU_DEP_1) | instskip(SKIP_2) | instid1(SALU_CYCLE_1)
	s_and_b32 s0, s0, s1
	s_and_not1_b32 s1, s2, exec_lo
	s_and_b32 s0, s0, exec_lo
	s_or_b32 s2, s1, s0
.LBB40_12:                              ;   in Loop: Header=BB40_6 Depth=1
	s_or_b32 exec_lo, exec_lo, s3
	s_delay_alu instid0(VALU_DEP_2)
	s_and_saveexec_b32 s0, s2
	s_cbranch_execz .LBB40_14
; %bb.13:                               ;   in Loop: Header=BB40_6 Depth=1
	s_waitcnt lgkmcnt(0)
	v_dual_mov_b32 v13, v15 :: v_dual_mov_b32 v12, v14
.LBB40_14:                              ;   in Loop: Header=BB40_6 Depth=1
	s_or_b32 exec_lo, exec_lo, s0
	ds_bpermute_b32 v15, v5, v13
	s_waitcnt lgkmcnt(1)
	ds_bpermute_b32 v14, v5, v12
	s_mov_b32 s3, exec_lo
	s_waitcnt lgkmcnt(1)
	v_cmp_lt_f32_e64 s2, v13, v15
	v_cmpx_nlt_f32_e32 v13, v15
	s_cbranch_execz .LBB40_16
; %bb.15:                               ;   in Loop: Header=BB40_6 Depth=1
	v_cmp_eq_f32_e64 s0, v13, v15
	s_waitcnt lgkmcnt(0)
	v_cmp_lt_i32_e64 s1, v14, v12
	s_delay_alu instid0(VALU_DEP_1) | instskip(SKIP_2) | instid1(SALU_CYCLE_1)
	s_and_b32 s0, s0, s1
	s_and_not1_b32 s1, s2, exec_lo
	s_and_b32 s0, s0, exec_lo
	s_or_b32 s2, s1, s0
.LBB40_16:                              ;   in Loop: Header=BB40_6 Depth=1
	s_or_b32 exec_lo, exec_lo, s3
	s_delay_alu instid0(VALU_DEP_2)
	s_and_saveexec_b32 s0, s2
	s_cbranch_execz .LBB40_18
; %bb.17:                               ;   in Loop: Header=BB40_6 Depth=1
	s_waitcnt lgkmcnt(0)
	v_dual_mov_b32 v13, v15 :: v_dual_mov_b32 v12, v14
.LBB40_18:                              ;   in Loop: Header=BB40_6 Depth=1
	s_or_b32 exec_lo, exec_lo, s0
	ds_bpermute_b32 v15, v6, v13
	s_waitcnt lgkmcnt(1)
	;; [unrolled: 27-line block ×3, first 2 shown]
	ds_bpermute_b32 v14, v7, v12
	s_mov_b32 s3, exec_lo
	s_waitcnt lgkmcnt(1)
	v_cmp_lt_f32_e64 s2, v13, v15
	v_cmpx_nlt_f32_e32 v13, v15
	s_cbranch_execz .LBB40_24
; %bb.23:                               ;   in Loop: Header=BB40_6 Depth=1
	v_cmp_eq_f32_e64 s0, v13, v15
	s_waitcnt lgkmcnt(0)
	v_cmp_lt_i32_e64 s1, v14, v12
	s_delay_alu instid0(VALU_DEP_1) | instskip(SKIP_2) | instid1(SALU_CYCLE_1)
	s_and_b32 s0, s0, s1
	s_and_not1_b32 s1, s2, exec_lo
	s_and_b32 s0, s0, exec_lo
	s_or_b32 s2, s1, s0
.LBB40_24:                              ;   in Loop: Header=BB40_6 Depth=1
	s_or_b32 exec_lo, exec_lo, s3
	s_delay_alu instid0(VALU_DEP_2)
	s_and_saveexec_b32 s0, s2
	s_cbranch_execz .LBB40_26
; %bb.25:                               ;   in Loop: Header=BB40_6 Depth=1
	s_waitcnt lgkmcnt(0)
	v_dual_mov_b32 v13, v15 :: v_dual_mov_b32 v12, v14
.LBB40_26:                              ;   in Loop: Header=BB40_6 Depth=1
	s_or_b32 exec_lo, exec_lo, s0
	s_waitcnt lgkmcnt(0)
	ds_bpermute_b32 v14, v8, v13
	ds_bpermute_b32 v15, v8, v12
	s_mov_b32 s3, exec_lo
	s_waitcnt lgkmcnt(1)
	v_cmp_lt_f32_e64 s2, v13, v14
	v_cmpx_nlt_f32_e32 v13, v14
	s_cbranch_execnz .LBB40_32
; %bb.27:                               ;   in Loop: Header=BB40_6 Depth=1
	s_or_b32 exec_lo, exec_lo, s3
	s_delay_alu instid0(VALU_DEP_2)
	s_and_saveexec_b32 s0, s2
	s_cbranch_execnz .LBB40_33
.LBB40_28:                              ;   in Loop: Header=BB40_6 Depth=1
	s_or_b32 exec_lo, exec_lo, s0
	s_and_saveexec_b32 s2, vcc_lo
	s_cbranch_execz .LBB40_30
.LBB40_29:                              ;   in Loop: Header=BB40_6 Depth=1
	v_add_nc_u32_e32 v14, s7, v9
	v_cmp_le_i32_e64 s0, s5, v12
	v_cmp_gt_i32_e64 s1, s6, v12
	v_subrev_nc_u32_e32 v16, s5, v12
	s_waitcnt lgkmcnt(0)
	v_ashrrev_i32_e32 v15, 31, v14
	s_delay_alu instid0(VALU_DEP_3) | instskip(NEXT) | instid1(SALU_CYCLE_1)
	s_and_b32 s0, s0, s1
	s_and_b32 s0, s15, s0
	s_delay_alu instid0(VALU_DEP_1) | instskip(SKIP_1) | instid1(VALU_DEP_2)
	v_lshlrev_b64 v[14:15], 2, v[14:15]
	v_cndmask_b32_e64 v20, 0x100, v16, s0
	v_add_co_u32 v16, s0, s12, v14
	s_delay_alu instid0(VALU_DEP_1) | instskip(SKIP_1) | instid1(VALU_DEP_1)
	v_add_co_ci_u32_e64 v17, s0, s13, v15, s0
	v_add_co_u32 v18, s0, s8, v14
	v_add_co_ci_u32_e64 v19, s0, s9, v15, s0
	v_add_co_u32 v14, s0, s10, v14
	s_delay_alu instid0(VALU_DEP_1)
	v_add_co_ci_u32_e64 v15, s0, s11, v15, s0
	global_store_b32 v[16:17], v13, off
	global_store_b32 v[18:19], v20, off
	;; [unrolled: 1-line block ×3, first 2 shown]
.LBB40_30:                              ;   in Loop: Header=BB40_6 Depth=1
	s_or_b32 exec_lo, exec_lo, s2
	v_ashrrev_i32_e32 v13, 31, v12
	s_add_i32 s7, s7, 1
	s_delay_alu instid0(SALU_CYCLE_1) | instskip(SKIP_1) | instid1(VALU_DEP_1)
	s_cmp_lt_i32 s7, s4
	s_cselect_b32 s1, -1, 0
	v_lshrrev_b32_e32 v14, 30, v13
	s_delay_alu instid0(VALU_DEP_1) | instskip(SKIP_1) | instid1(VALU_DEP_1)
	v_add_nc_u32_e32 v14, v12, v14
	s_waitcnt lgkmcnt(0)
	v_ashrrev_i32_e32 v15, 31, v14
	v_ashrrev_i32_e32 v14, 2, v14
	s_delay_alu instid0(VALU_DEP_2) | instskip(NEXT) | instid1(VALU_DEP_1)
	v_lshrrev_b32_e32 v15, 26, v15
	v_add_nc_u32_e32 v15, v14, v15
	s_delay_alu instid0(VALU_DEP_1) | instskip(NEXT) | instid1(VALU_DEP_1)
	v_and_b32_e32 v15, 0xffffffc0, v15
	v_sub_nc_u32_e32 v15, v14, v15
	s_delay_alu instid0(VALU_DEP_1) | instskip(NEXT) | instid1(VALU_DEP_1)
	v_cmp_eq_u32_e64 s0, v2, v15
	s_and_b32 s1, s1, s0
	s_delay_alu instid0(SALU_CYCLE_1)
	s_and_saveexec_b32 s0, s1
	s_cbranch_execz .LBB40_5
; %bb.31:                               ;   in Loop: Header=BB40_6 Depth=1
	v_lshrrev_b32_e32 v13, 24, v13
	v_lshlrev_b32_e32 v14, 2, v14
	s_delay_alu instid0(VALU_DEP_2) | instskip(NEXT) | instid1(VALU_DEP_2)
	v_add_nc_u32_e32 v13, v12, v13
	v_sub_nc_u32_e32 v12, v12, v14
	s_delay_alu instid0(VALU_DEP_2) | instskip(NEXT) | instid1(VALU_DEP_1)
	v_ashrrev_i32_e32 v13, 8, v13
	v_lshl_add_u32 v12, v13, 2, v12
	s_delay_alu instid0(VALU_DEP_1)
	v_lshl_add_u32 v12, v12, 2, v0
	ds_store_b32 v12, v11
	s_branch .LBB40_5
.LBB40_32:                              ;   in Loop: Header=BB40_6 Depth=1
	v_cmp_eq_f32_e64 s0, v13, v14
	s_waitcnt lgkmcnt(0)
	v_cmp_lt_i32_e64 s1, v15, v12
	s_delay_alu instid0(VALU_DEP_1) | instskip(SKIP_2) | instid1(SALU_CYCLE_1)
	s_and_b32 s0, s0, s1
	s_and_not1_b32 s1, s2, exec_lo
	s_and_b32 s0, s0, exec_lo
	s_or_b32 s2, s1, s0
	s_or_b32 exec_lo, exec_lo, s3
	s_and_saveexec_b32 s0, s2
	s_cbranch_execz .LBB40_28
.LBB40_33:                              ;   in Loop: Header=BB40_6 Depth=1
	s_waitcnt lgkmcnt(0)
	v_dual_mov_b32 v13, v14 :: v_dual_mov_b32 v12, v15
	s_or_b32 exec_lo, exec_lo, s0
	s_and_saveexec_b32 s2, vcc_lo
	s_cbranch_execnz .LBB40_29
	s_branch .LBB40_30
.LBB40_34:
	s_nop 0
	s_sendmsg sendmsg(MSG_DEALLOC_VGPRS)
	s_endpgm
	.section	.rodata,"a",@progbits
	.p2align	6, 0x0
	.amdhsa_kernel _ZN4vllm3moe17topkGatingSoftmaxILi4ELi256ELi4ELi16ELi64EjEEvPKfPKbPfiPT4_Piiii
		.amdhsa_group_segment_fixed_size 4096
		.amdhsa_private_segment_fixed_size 0
		.amdhsa_kernarg_size 60
		.amdhsa_user_sgpr_count 15
		.amdhsa_user_sgpr_dispatch_ptr 1
		.amdhsa_user_sgpr_queue_ptr 0
		.amdhsa_user_sgpr_kernarg_segment_ptr 1
		.amdhsa_user_sgpr_dispatch_id 0
		.amdhsa_user_sgpr_private_segment_size 0
		.amdhsa_wavefront_size32 1
		.amdhsa_uses_dynamic_stack 0
		.amdhsa_enable_private_segment 0
		.amdhsa_system_sgpr_workgroup_id_x 1
		.amdhsa_system_sgpr_workgroup_id_y 0
		.amdhsa_system_sgpr_workgroup_id_z 0
		.amdhsa_system_sgpr_workgroup_info 0
		.amdhsa_system_vgpr_workitem_id 2
		.amdhsa_next_free_vgpr 27
		.amdhsa_next_free_sgpr 16
		.amdhsa_reserve_vcc 1
		.amdhsa_float_round_mode_32 0
		.amdhsa_float_round_mode_16_64 0
		.amdhsa_float_denorm_mode_32 3
		.amdhsa_float_denorm_mode_16_64 3
		.amdhsa_dx10_clamp 1
		.amdhsa_ieee_mode 1
		.amdhsa_fp16_overflow 0
		.amdhsa_workgroup_processor_mode 1
		.amdhsa_memory_ordered 1
		.amdhsa_forward_progress 0
		.amdhsa_shared_vgpr_count 0
		.amdhsa_exception_fp_ieee_invalid_op 0
		.amdhsa_exception_fp_denorm_src 0
		.amdhsa_exception_fp_ieee_div_zero 0
		.amdhsa_exception_fp_ieee_overflow 0
		.amdhsa_exception_fp_ieee_underflow 0
		.amdhsa_exception_fp_ieee_inexact 0
		.amdhsa_exception_int_div_zero 0
	.end_amdhsa_kernel
	.section	.text._ZN4vllm3moe17topkGatingSoftmaxILi4ELi256ELi4ELi16ELi64EjEEvPKfPKbPfiPT4_Piiii,"axG",@progbits,_ZN4vllm3moe17topkGatingSoftmaxILi4ELi256ELi4ELi16ELi64EjEEvPKfPKbPfiPT4_Piiii,comdat
.Lfunc_end40:
	.size	_ZN4vllm3moe17topkGatingSoftmaxILi4ELi256ELi4ELi16ELi64EjEEvPKfPKbPfiPT4_Piiii, .Lfunc_end40-_ZN4vllm3moe17topkGatingSoftmaxILi4ELi256ELi4ELi16ELi64EjEEvPKfPKbPfiPT4_Piiii
                                        ; -- End function
	.section	.AMDGPU.csdata,"",@progbits
; Kernel info:
; codeLenInByte = 2420
; NumSgprs: 18
; NumVgprs: 27
; ScratchSize: 0
; MemoryBound: 0
; FloatMode: 240
; IeeeMode: 1
; LDSByteSize: 4096 bytes/workgroup (compile time only)
; SGPRBlocks: 2
; VGPRBlocks: 3
; NumSGPRsForWavesPerEU: 18
; NumVGPRsForWavesPerEU: 27
; Occupancy: 16
; WaveLimiterHint : 0
; COMPUTE_PGM_RSRC2:SCRATCH_EN: 0
; COMPUTE_PGM_RSRC2:USER_SGPR: 15
; COMPUTE_PGM_RSRC2:TRAP_HANDLER: 0
; COMPUTE_PGM_RSRC2:TGID_X_EN: 1
; COMPUTE_PGM_RSRC2:TGID_Y_EN: 0
; COMPUTE_PGM_RSRC2:TGID_Z_EN: 0
; COMPUTE_PGM_RSRC2:TIDIG_COMP_CNT: 2
	.section	.text._ZN4vllm3moe17topkGatingSoftmaxILi8ELi256ELi4ELi16ELi32EjEEvPKfPKbPfiPT4_Piiii,"axG",@progbits,_ZN4vllm3moe17topkGatingSoftmaxILi8ELi256ELi4ELi16ELi32EjEEvPKfPKbPfiPT4_Piiii,comdat
	.protected	_ZN4vllm3moe17topkGatingSoftmaxILi8ELi256ELi4ELi16ELi32EjEEvPKfPKbPfiPT4_Piiii ; -- Begin function _ZN4vllm3moe17topkGatingSoftmaxILi8ELi256ELi4ELi16ELi32EjEEvPKfPKbPfiPT4_Piiii
	.globl	_ZN4vllm3moe17topkGatingSoftmaxILi8ELi256ELi4ELi16ELi32EjEEvPKfPKbPfiPT4_Piiii
	.p2align	8
	.type	_ZN4vllm3moe17topkGatingSoftmaxILi8ELi256ELi4ELi16ELi32EjEEvPKfPKbPfiPT4_Piiii,@function
_ZN4vllm3moe17topkGatingSoftmaxILi8ELi256ELi4ELi16ELi32EjEEvPKfPKbPfiPT4_Piiii: ; @_ZN4vllm3moe17topkGatingSoftmaxILi8ELi256ELi4ELi16ELi32EjEEvPKfPKbPfiPT4_Piiii
; %bb.0:
	s_load_b32 s14, s[2:3], 0x18
	v_and_b32_e32 v8, 0x3ff, v0
	v_bfe_u32 v9, v0, 10, 10
	s_lshl_b32 s4, s15, 2
	s_delay_alu instid0(VALU_DEP_2) | instskip(NEXT) | instid1(VALU_DEP_1)
	v_lshrrev_b32_e32 v1, 5, v8
	v_add3_u32 v1, s4, v9, v1
	s_mov_b32 s4, exec_lo
	s_waitcnt lgkmcnt(0)
	s_delay_alu instid0(VALU_DEP_1)
	v_cmpx_gt_i32_e64 s14, v1
	s_cbranch_execz .LBB41_30
; %bb.1:
	s_clause 0x1
	s_load_b128 s[4:7], s[2:3], 0x0
	s_load_b64 s[12:13], s[2:3], 0x10
	s_mov_b32 s15, -1
	s_waitcnt lgkmcnt(0)
	s_cmp_eq_u64 s[6:7], 0
	s_cbranch_scc1 .LBB41_3
; %bb.2:
	v_ashrrev_i32_e32 v3, 31, v1
	v_add_co_u32 v2, vcc_lo, s6, v1
	s_delay_alu instid0(VALU_DEP_2) | instskip(SKIP_3) | instid1(VALU_DEP_1)
	v_add_co_ci_u32_e32 v3, vcc_lo, s7, v3, vcc_lo
	global_load_u8 v2, v[2:3], off
	s_waitcnt vmcnt(0)
	v_and_b32_e32 v2, 1, v2
	v_cmp_eq_u32_e32 vcc_lo, 1, v2
	s_xor_b32 s6, vcc_lo, -1
	s_delay_alu instid0(SALU_CYCLE_1)
	s_or_not1_b32 s15, s6, exec_lo
.LBB41_3:
	v_lshlrev_b32_e32 v3, 8, v1
	v_and_b32_e32 v2, 31, v8
	v_mbcnt_lo_u32_b32 v7, -1, 0
	s_load_b64 s[0:1], s[0:1], 0x4
	v_bfe_u32 v0, v0, 20, 10
	v_ashrrev_i32_e32 v4, 31, v3
	v_lshlrev_b32_e32 v5, 4, v2
	v_xor_b32_e32 v6, 8, v7
	s_delay_alu instid0(VALU_DEP_3) | instskip(NEXT) | instid1(VALU_DEP_1)
	v_lshlrev_b64 v[3:4], 2, v[3:4]
	v_add_co_u32 v3, vcc_lo, s4, v3
	s_delay_alu instid0(VALU_DEP_2) | instskip(SKIP_1) | instid1(VALU_DEP_2)
	v_add_co_ci_u32_e32 v4, vcc_lo, s5, v4, vcc_lo
	s_load_b128 s[4:7], s[2:3], 0x30
	v_add_co_u32 v3, vcc_lo, v3, v5
	s_delay_alu instid0(VALU_DEP_2)
	v_add_co_ci_u32_e32 v4, vcc_lo, 0, v4, vcc_lo
	s_waitcnt lgkmcnt(0)
	v_mul_u32_u24_e32 v9, s1, v9
	s_lshr_b32 s0, s0, 16
	s_mov_b32 s7, 0
	s_clause 0x1
	global_load_b128 v[10:13], v[3:4], off
	global_load_b128 v[14:17], v[3:4], off offset:512
	s_mul_i32 s0, s0, s1
	s_delay_alu instid0(SALU_CYCLE_1) | instskip(NEXT) | instid1(VALU_DEP_1)
	v_mad_u32_u24 v8, s0, v8, v9
	v_add_lshl_u32 v0, v8, v0, 5
	s_cmp_lt_i32 s4, 1
	s_waitcnt vmcnt(1)
	v_dual_max_f32 v3, v11, v11 :: v_dual_max_f32 v4, v10, v10
	s_delay_alu instid0(VALU_DEP_1) | instskip(SKIP_1) | instid1(VALU_DEP_1)
	v_max_f32_e32 v3, v4, v3
	v_xor_b32_e32 v4, 16, v7
	v_cmp_gt_i32_e32 vcc_lo, 32, v4
	v_cndmask_b32_e32 v4, v7, v4, vcc_lo
	v_cmp_gt_i32_e32 vcc_lo, 32, v6
	v_cndmask_b32_e32 v6, v7, v6, vcc_lo
	v_max3_f32 v3, v3, v12, v13
	s_waitcnt vmcnt(0)
	s_delay_alu instid0(VALU_DEP_1) | instskip(NEXT) | instid1(VALU_DEP_1)
	v_max3_f32 v5, v3, v14, v15
	v_max3_f32 v5, v5, v16, v17
	v_lshlrev_b32_e32 v3, 2, v4
	ds_bpermute_b32 v4, v3, v5
	s_waitcnt lgkmcnt(0)
	v_max_f32_e32 v18, v4, v4
	v_lshlrev_b32_e32 v4, 2, v6
	s_delay_alu instid0(VALU_DEP_2)
	v_max_f32_e32 v6, v5, v18
	v_xor_b32_e32 v18, 4, v7
	ds_bpermute_b32 v5, v4, v6
	v_cmp_gt_i32_e32 vcc_lo, 32, v18
	s_waitcnt lgkmcnt(0)
	v_dual_cndmask_b32 v18, v7, v18 :: v_dual_max_f32 v19, v5, v5
	s_delay_alu instid0(VALU_DEP_1)
	v_dual_max_f32 v18, v6, v19 :: v_dual_lshlrev_b32 v5, 2, v18
	v_xor_b32_e32 v19, 2, v7
	ds_bpermute_b32 v6, v5, v18
	v_cmp_gt_i32_e32 vcc_lo, 32, v19
	s_waitcnt lgkmcnt(0)
	v_dual_cndmask_b32 v19, v7, v19 :: v_dual_max_f32 v20, v6, v6
	s_delay_alu instid0(VALU_DEP_1) | instskip(SKIP_1) | instid1(VALU_DEP_1)
	v_max_f32_e32 v18, v18, v20
	v_xor_b32_e32 v20, 1, v7
	v_cmp_gt_i32_e32 vcc_lo, 32, v20
	s_delay_alu instid0(VALU_DEP_4) | instskip(SKIP_4) | instid1(VALU_DEP_1)
	v_dual_cndmask_b32 v7, v7, v20 :: v_dual_lshlrev_b32 v6, 2, v19
	ds_bpermute_b32 v19, v6, v18
	v_lshlrev_b32_e32 v7, 2, v7
	s_waitcnt lgkmcnt(0)
	v_max_f32_e32 v19, v19, v19
	v_max_f32_e32 v18, v18, v19
	ds_bpermute_b32 v19, v7, v18
	s_waitcnt lgkmcnt(0)
	v_max_f32_e32 v19, v19, v19
	s_delay_alu instid0(VALU_DEP_1) | instskip(NEXT) | instid1(VALU_DEP_1)
	v_max_f32_e32 v18, v18, v19
	v_sub_f32_e32 v17, v17, v18
	s_delay_alu instid0(VALU_DEP_1)
	v_mul_f32_e32 v25, 0x3fb8aa3b, v17
	v_sub_f32_e32 v15, v15, v18
	v_sub_f32_e32 v12, v12, v18
	;; [unrolled: 1-line block ×4, first 2 shown]
	v_rndne_f32_e32 v41, v25
	v_mul_f32_e32 v23, 0x3fb8aa3b, v15
	v_dual_sub_f32 v11, v11, v18 :: v_dual_mul_f32 v20, 0x3fb8aa3b, v12
	v_sub_f32_e32 v10, v10, v18
	v_mul_f32_e32 v24, 0x3fb8aa3b, v16
	s_delay_alu instid0(VALU_DEP_4) | instskip(NEXT) | instid1(VALU_DEP_4)
	v_rndne_f32_e32 v37, v23
	v_mul_f32_e32 v19, 0x3fb8aa3b, v11
	v_mul_f32_e32 v21, 0x3fb8aa3b, v13
	v_fma_f32 v30, 0x3fb8aa3b, v12, -v20
	v_rndne_f32_e32 v31, v20
	v_cmp_ngt_f32_e32 vcc_lo, 0xc2ce8ed0, v10
	v_fma_f32 v28, 0x3fb8aa3b, v11, -v19
	v_rndne_f32_e32 v29, v19
	v_sub_f32_e32 v14, v14, v18
	v_mul_f32_e32 v18, 0x3fb8aa3b, v10
	v_fma_f32 v32, 0x3fb8aa3b, v13, -v21
	v_fmac_f32_e32 v28, 0x32a5705f, v11
	v_fma_f32 v40, 0x3fb8aa3b, v17, -v25
	v_dual_sub_f32 v19, v19, v29 :: v_dual_mul_f32 v22, 0x3fb8aa3b, v14
	v_sub_f32_e32 v25, v25, v41
	v_fma_f32 v26, 0x3fb8aa3b, v10, -v18
	v_rndne_f32_e32 v27, v18
	v_fmac_f32_e32 v40, 0x32a5705f, v17
	v_fma_f32 v34, 0x3fb8aa3b, v14, -v22
	s_delay_alu instid0(VALU_DEP_4) | instskip(NEXT) | instid1(VALU_DEP_3)
	v_dual_add_f32 v19, v19, v28 :: v_dual_fmac_f32 v26, 0x32a5705f, v10
	v_dual_sub_f32 v18, v18, v27 :: v_dual_add_f32 v25, v25, v40
	s_delay_alu instid0(VALU_DEP_3) | instskip(SKIP_2) | instid1(VALU_DEP_4)
	v_fmac_f32_e32 v34, 0x32a5705f, v14
	v_fma_f32 v36, 0x3fb8aa3b, v15, -v23
	v_cvt_i32_f32_e32 v27, v27
	v_add_f32_e32 v18, v18, v26
	v_exp_f32_e32 v25, v25
	v_exp_f32_e32 v19, v19
	v_cvt_i32_f32_e32 v28, v41
	v_rndne_f32_e32 v33, v21
	v_exp_f32_e32 v18, v18
	v_cvt_i32_f32_e32 v29, v29
	v_sub_f32_e32 v23, v23, v37
	v_rndne_f32_e32 v35, v22
	v_sub_f32_e32 v21, v21, v33
	v_cvt_i32_f32_e32 v33, v33
	v_ldexp_f32 v25, v25, v28
	v_fmac_f32_e32 v36, 0x32a5705f, v15
	v_fmac_f32_e32 v32, 0x32a5705f, v13
	v_ldexp_f32 v19, v19, v29
	v_ldexp_f32 v18, v18, v27
	v_fma_f32 v38, 0x3fb8aa3b, v16, -v24
	v_dual_add_f32 v23, v23, v36 :: v_dual_sub_f32 v20, v20, v31
	s_delay_alu instid0(VALU_DEP_3) | instskip(SKIP_3) | instid1(VALU_DEP_4)
	v_dual_add_f32 v21, v21, v32 :: v_dual_cndmask_b32 v18, 0, v18
	v_cmp_ngt_f32_e32 vcc_lo, 0xc2ce8ed0, v11
	v_fmac_f32_e32 v30, 0x32a5705f, v12
	v_cvt_i32_f32_e32 v31, v31
	v_exp_f32_e32 v21, v21
	v_rndne_f32_e32 v39, v24
	s_delay_alu instid0(VALU_DEP_3) | instskip(SKIP_2) | instid1(VALU_DEP_3)
	v_dual_cndmask_b32 v19, 0, v19 :: v_dual_add_f32 v20, v20, v30
	v_cmp_ngt_f32_e32 vcc_lo, 0xc2ce8ed0, v12
	v_exp_f32_e32 v23, v23
	v_sub_f32_e32 v24, v24, v39
	v_cvt_i32_f32_e32 v37, v37
	v_exp_f32_e32 v20, v20
	v_cvt_i32_f32_e32 v26, v39
	s_delay_alu instid0(TRANS32_DEP_3) | instskip(SKIP_3) | instid1(VALU_DEP_1)
	v_ldexp_f32 v21, v21, v33
	s_waitcnt_depctr 0xfff
	v_ldexp_f32 v23, v23, v37
	v_ldexp_f32 v20, v20, v31
	v_cndmask_b32_e32 v20, 0, v20, vcc_lo
	v_cmp_nlt_f32_e32 vcc_lo, 0x42b17218, v10
	v_cndmask_b32_e32 v10, 0x7f800000, v18, vcc_lo
	v_cmp_nlt_f32_e32 vcc_lo, 0x42b17218, v11
	v_cndmask_b32_e32 v11, 0x7f800000, v19, vcc_lo
	v_cmp_ngt_f32_e32 vcc_lo, 0xc2ce8ed0, v13
	s_delay_alu instid0(VALU_DEP_2)
	v_dual_fmac_f32 v38, 0x32a5705f, v16 :: v_dual_add_f32 v19, v10, v11
	v_cndmask_b32_e32 v18, 0, v21, vcc_lo
	v_sub_f32_e32 v22, v22, v35
	v_cvt_i32_f32_e32 v35, v35
	v_cmp_nlt_f32_e32 vcc_lo, 0x42b17218, v12
	v_add_f32_e32 v24, v24, v38
	s_delay_alu instid0(VALU_DEP_4) | instskip(SKIP_2) | instid1(VALU_DEP_4)
	v_add_f32_e32 v22, v22, v34
	v_cndmask_b32_e32 v12, 0x7f800000, v20, vcc_lo
	v_cmp_ngt_f32_e32 vcc_lo, 0xc2ce8ed0, v14
	v_exp_f32_e32 v24, v24
	s_delay_alu instid0(VALU_DEP_3) | instskip(SKIP_3) | instid1(VALU_DEP_1)
	v_exp_f32_e32 v22, v22
	s_waitcnt_depctr 0xfff
	v_ldexp_f32 v24, v24, v26
	v_ldexp_f32 v22, v22, v35
	v_cndmask_b32_e32 v20, 0, v22, vcc_lo
	v_cmp_nlt_f32_e32 vcc_lo, 0x42b17218, v13
	v_cndmask_b32_e32 v13, 0x7f800000, v18, vcc_lo
	v_cmp_ngt_f32_e32 vcc_lo, 0xc2ce8ed0, v15
	v_dual_add_f32 v18, v19, v12 :: v_dual_cndmask_b32 v19, 0, v23
	v_cmp_nlt_f32_e32 vcc_lo, 0x42b17218, v14
	s_delay_alu instid0(VALU_DEP_2) | instskip(SKIP_2) | instid1(VALU_DEP_2)
	v_add_f32_e32 v18, v18, v13
	v_cndmask_b32_e32 v14, 0x7f800000, v20, vcc_lo
	v_cmp_ngt_f32_e32 vcc_lo, 0xc2ce8ed0, v16
	v_add_f32_e32 v18, v18, v14
	v_cndmask_b32_e32 v20, 0, v24, vcc_lo
	v_cmp_nlt_f32_e32 vcc_lo, 0x42b17218, v15
	v_cndmask_b32_e32 v15, 0x7f800000, v19, vcc_lo
	v_cmp_ngt_f32_e32 vcc_lo, 0xc2ce8ed0, v17
	s_delay_alu instid0(VALU_DEP_2) | instskip(SKIP_3) | instid1(VALU_DEP_2)
	v_dual_add_f32 v18, v18, v15 :: v_dual_cndmask_b32 v19, 0, v25
	v_cmp_nlt_f32_e32 vcc_lo, 0x42b17218, v16
	v_cndmask_b32_e32 v16, 0x7f800000, v20, vcc_lo
	v_cmp_nlt_f32_e32 vcc_lo, 0x42b17218, v17
	v_dual_add_f32 v18, v18, v16 :: v_dual_cndmask_b32 v17, 0x7f800000, v19
	s_delay_alu instid0(VALU_DEP_1)
	v_add_f32_e32 v18, v18, v17
	ds_bpermute_b32 v19, v3, v18
	s_waitcnt lgkmcnt(0)
	v_add_f32_e32 v18, v18, v19
	ds_bpermute_b32 v19, v4, v18
	s_waitcnt lgkmcnt(0)
	v_add_f32_e32 v18, v18, v19
	ds_bpermute_b32 v19, v5, v18
	s_waitcnt lgkmcnt(0)
	v_add_f32_e32 v18, v18, v19
	ds_bpermute_b32 v19, v6, v18
	s_waitcnt lgkmcnt(0)
	v_add_f32_e32 v18, v18, v19
	ds_bpermute_b32 v19, v7, v18
	s_waitcnt lgkmcnt(0)
	v_add_f32_e32 v18, v18, v19
	s_delay_alu instid0(VALU_DEP_1) | instskip(SKIP_1) | instid1(VALU_DEP_2)
	v_div_scale_f32 v19, null, v18, v18, 1.0
	v_div_scale_f32 v22, vcc_lo, 1.0, v18, 1.0
	v_rcp_f32_e32 v20, v19
	s_waitcnt_depctr 0xfff
	v_fma_f32 v21, -v19, v20, 1.0
	s_delay_alu instid0(VALU_DEP_1) | instskip(NEXT) | instid1(VALU_DEP_1)
	v_fmac_f32_e32 v20, v21, v20
	v_mul_f32_e32 v21, v22, v20
	s_delay_alu instid0(VALU_DEP_1) | instskip(NEXT) | instid1(VALU_DEP_1)
	v_fma_f32 v23, -v19, v21, v22
	v_fmac_f32_e32 v21, v23, v20
	s_delay_alu instid0(VALU_DEP_1) | instskip(NEXT) | instid1(VALU_DEP_1)
	v_fma_f32 v19, -v19, v21, v22
	v_div_fmas_f32 v19, v19, v20, v21
	s_delay_alu instid0(VALU_DEP_1) | instskip(NEXT) | instid1(VALU_DEP_1)
	v_div_fixup_f32 v18, v19, v18, 1.0
	v_mul_f32_e32 v9, v18, v11
	v_mul_f32_e32 v11, v18, v13
	;; [unrolled: 1-line block ×8, first 2 shown]
	ds_store_b128 v0, v[8:11]
	ds_store_b128 v0, v[12:15] offset:16
	s_cbranch_scc1 .LBB41_30
; %bb.4:
	s_load_b128 s[8:11], s[2:3], 0x20
	v_mul_lo_u32 v8, v1, s4
	v_dual_mov_b32 v10, 0xc61c4000 :: v_dual_lshlrev_b32 v9, 2, v2
	v_cmp_eq_u32_e32 vcc_lo, 0, v2
	s_branch .LBB41_6
.LBB41_5:                               ;   in Loop: Header=BB41_6 Depth=1
	s_or_b32 exec_lo, exec_lo, s0
	v_add_nc_u32_e32 v1, s14, v1
	s_cmp_lg_u32 s4, s7
	s_cbranch_scc0 .LBB41_30
.LBB41_6:                               ; =>This Inner Loop Header: Depth=1
	ds_load_b128 v[11:14], v0
	ds_load_b128 v[15:18], v0 offset:16
	s_mov_b32 s3, exec_lo
	s_waitcnt lgkmcnt(0)
	v_cmp_gt_f32_e64 s0, v12, v11
	s_delay_alu instid0(VALU_DEP_1) | instskip(SKIP_1) | instid1(VALU_DEP_2)
	v_cndmask_b32_e64 v11, v11, v12, s0
	v_cndmask_b32_e64 v12, 0, 1, s0
	v_cmp_gt_f32_e64 s0, v13, v11
	s_delay_alu instid0(VALU_DEP_1) | instskip(NEXT) | instid1(VALU_DEP_3)
	v_cndmask_b32_e64 v11, v11, v13, s0
	v_cndmask_b32_e64 v12, v12, 2, s0
	s_delay_alu instid0(VALU_DEP_2) | instskip(NEXT) | instid1(VALU_DEP_1)
	v_cmp_gt_f32_e64 s0, v14, v11
	v_cndmask_b32_e64 v11, v11, v14, s0
	s_delay_alu instid0(VALU_DEP_3) | instskip(NEXT) | instid1(VALU_DEP_2)
	v_cndmask_b32_e64 v12, v12, 3, s0
	v_cmp_gt_f32_e64 s0, v15, v11
	s_delay_alu instid0(VALU_DEP_1) | instskip(NEXT) | instid1(VALU_DEP_3)
	v_cndmask_b32_e64 v11, v11, v15, s0
	v_cndmask_b32_e64 v12, v12, 0x80, s0
	s_delay_alu instid0(VALU_DEP_2) | instskip(NEXT) | instid1(VALU_DEP_1)
	v_cmp_gt_f32_e64 s0, v16, v11
	v_cndmask_b32_e64 v11, v11, v16, s0
	s_delay_alu instid0(VALU_DEP_3) | instskip(NEXT) | instid1(VALU_DEP_2)
	v_cndmask_b32_e64 v12, v12, 0x81, s0
	v_cmp_gt_f32_e64 s0, v17, v11
	s_delay_alu instid0(VALU_DEP_1) | instskip(NEXT) | instid1(VALU_DEP_3)
	v_cndmask_b32_e64 v11, v11, v17, s0
	v_cndmask_b32_e64 v13, v12, 0x82, s0
	s_delay_alu instid0(VALU_DEP_2) | instskip(NEXT) | instid1(VALU_DEP_1)
	v_cmp_gt_f32_e64 s0, v18, v11
	v_cndmask_b32_e64 v12, v11, v18, s0
	s_delay_alu instid0(VALU_DEP_3)
	v_cndmask_b32_e64 v11, v13, 0x83, s0
	ds_bpermute_b32 v13, v3, v12
	v_or_b32_e32 v11, v9, v11
	ds_bpermute_b32 v14, v3, v11
	s_waitcnt lgkmcnt(1)
	v_cmp_lt_f32_e64 s2, v12, v13
	v_cmpx_nlt_f32_e32 v12, v13
	s_cbranch_execz .LBB41_8
; %bb.7:                                ;   in Loop: Header=BB41_6 Depth=1
	v_cmp_eq_f32_e64 s0, v12, v13
	s_waitcnt lgkmcnt(0)
	v_cmp_lt_i32_e64 s1, v14, v11
	s_delay_alu instid0(VALU_DEP_1) | instskip(SKIP_2) | instid1(SALU_CYCLE_1)
	s_and_b32 s0, s0, s1
	s_and_not1_b32 s1, s2, exec_lo
	s_and_b32 s0, s0, exec_lo
	s_or_b32 s2, s1, s0
.LBB41_8:                               ;   in Loop: Header=BB41_6 Depth=1
	s_or_b32 exec_lo, exec_lo, s3
	s_delay_alu instid0(VALU_DEP_2)
	s_and_saveexec_b32 s0, s2
	s_cbranch_execz .LBB41_10
; %bb.9:                                ;   in Loop: Header=BB41_6 Depth=1
	s_waitcnt lgkmcnt(0)
	v_dual_mov_b32 v12, v13 :: v_dual_mov_b32 v11, v14
.LBB41_10:                              ;   in Loop: Header=BB41_6 Depth=1
	s_or_b32 exec_lo, exec_lo, s0
	s_waitcnt lgkmcnt(0)
	ds_bpermute_b32 v14, v4, v12
	ds_bpermute_b32 v13, v4, v11
	s_mov_b32 s3, exec_lo
	s_waitcnt lgkmcnt(1)
	v_cmp_lt_f32_e64 s2, v12, v14
	v_cmpx_nlt_f32_e32 v12, v14
	s_cbranch_execz .LBB41_12
; %bb.11:                               ;   in Loop: Header=BB41_6 Depth=1
	v_cmp_eq_f32_e64 s0, v12, v14
	s_waitcnt lgkmcnt(0)
	v_cmp_lt_i32_e64 s1, v13, v11
	s_delay_alu instid0(VALU_DEP_1) | instskip(SKIP_2) | instid1(SALU_CYCLE_1)
	s_and_b32 s0, s0, s1
	s_and_not1_b32 s1, s2, exec_lo
	s_and_b32 s0, s0, exec_lo
	s_or_b32 s2, s1, s0
.LBB41_12:                              ;   in Loop: Header=BB41_6 Depth=1
	s_or_b32 exec_lo, exec_lo, s3
	s_delay_alu instid0(VALU_DEP_2)
	s_and_saveexec_b32 s0, s2
	s_cbranch_execz .LBB41_14
; %bb.13:                               ;   in Loop: Header=BB41_6 Depth=1
	s_waitcnt lgkmcnt(0)
	v_dual_mov_b32 v12, v14 :: v_dual_mov_b32 v11, v13
.LBB41_14:                              ;   in Loop: Header=BB41_6 Depth=1
	s_or_b32 exec_lo, exec_lo, s0
	ds_bpermute_b32 v14, v5, v12
	s_waitcnt lgkmcnt(1)
	ds_bpermute_b32 v13, v5, v11
	s_mov_b32 s3, exec_lo
	s_waitcnt lgkmcnt(1)
	v_cmp_lt_f32_e64 s2, v12, v14
	v_cmpx_nlt_f32_e32 v12, v14
	s_cbranch_execz .LBB41_16
; %bb.15:                               ;   in Loop: Header=BB41_6 Depth=1
	v_cmp_eq_f32_e64 s0, v12, v14
	s_waitcnt lgkmcnt(0)
	v_cmp_lt_i32_e64 s1, v13, v11
	s_delay_alu instid0(VALU_DEP_1) | instskip(SKIP_2) | instid1(SALU_CYCLE_1)
	s_and_b32 s0, s0, s1
	s_and_not1_b32 s1, s2, exec_lo
	s_and_b32 s0, s0, exec_lo
	s_or_b32 s2, s1, s0
.LBB41_16:                              ;   in Loop: Header=BB41_6 Depth=1
	s_or_b32 exec_lo, exec_lo, s3
	s_delay_alu instid0(VALU_DEP_2)
	s_and_saveexec_b32 s0, s2
	s_cbranch_execz .LBB41_18
; %bb.17:                               ;   in Loop: Header=BB41_6 Depth=1
	s_waitcnt lgkmcnt(0)
	v_dual_mov_b32 v12, v14 :: v_dual_mov_b32 v11, v13
.LBB41_18:                              ;   in Loop: Header=BB41_6 Depth=1
	s_or_b32 exec_lo, exec_lo, s0
	ds_bpermute_b32 v14, v6, v12
	s_waitcnt lgkmcnt(1)
	ds_bpermute_b32 v13, v6, v11
	s_mov_b32 s3, exec_lo
	s_waitcnt lgkmcnt(1)
	v_cmp_lt_f32_e64 s2, v12, v14
	v_cmpx_nlt_f32_e32 v12, v14
	s_cbranch_execz .LBB41_20
; %bb.19:                               ;   in Loop: Header=BB41_6 Depth=1
	v_cmp_eq_f32_e64 s0, v12, v14
	s_waitcnt lgkmcnt(0)
	v_cmp_lt_i32_e64 s1, v13, v11
	s_delay_alu instid0(VALU_DEP_1) | instskip(SKIP_2) | instid1(SALU_CYCLE_1)
	s_and_b32 s0, s0, s1
	s_and_not1_b32 s1, s2, exec_lo
	s_and_b32 s0, s0, exec_lo
	s_or_b32 s2, s1, s0
.LBB41_20:                              ;   in Loop: Header=BB41_6 Depth=1
	s_or_b32 exec_lo, exec_lo, s3
	s_delay_alu instid0(VALU_DEP_2)
	s_and_saveexec_b32 s0, s2
	s_cbranch_execz .LBB41_22
; %bb.21:                               ;   in Loop: Header=BB41_6 Depth=1
	s_waitcnt lgkmcnt(0)
	v_dual_mov_b32 v12, v14 :: v_dual_mov_b32 v11, v13
.LBB41_22:                              ;   in Loop: Header=BB41_6 Depth=1
	s_or_b32 exec_lo, exec_lo, s0
	s_waitcnt lgkmcnt(0)
	ds_bpermute_b32 v13, v7, v12
	ds_bpermute_b32 v14, v7, v11
	s_mov_b32 s3, exec_lo
	s_waitcnt lgkmcnt(1)
	v_cmp_lt_f32_e64 s2, v12, v13
	v_cmpx_nlt_f32_e32 v12, v13
	s_cbranch_execnz .LBB41_28
; %bb.23:                               ;   in Loop: Header=BB41_6 Depth=1
	s_or_b32 exec_lo, exec_lo, s3
	s_delay_alu instid0(VALU_DEP_2)
	s_and_saveexec_b32 s0, s2
	s_cbranch_execnz .LBB41_29
.LBB41_24:                              ;   in Loop: Header=BB41_6 Depth=1
	s_or_b32 exec_lo, exec_lo, s0
	s_and_saveexec_b32 s2, vcc_lo
	s_cbranch_execz .LBB41_26
.LBB41_25:                              ;   in Loop: Header=BB41_6 Depth=1
	v_add_nc_u32_e32 v13, s7, v8
	v_cmp_le_i32_e64 s0, s5, v11
	v_cmp_gt_i32_e64 s1, s6, v11
	v_subrev_nc_u32_e32 v15, s5, v11
	s_waitcnt lgkmcnt(0)
	v_ashrrev_i32_e32 v14, 31, v13
	s_delay_alu instid0(VALU_DEP_3) | instskip(NEXT) | instid1(SALU_CYCLE_1)
	s_and_b32 s0, s0, s1
	s_and_b32 s0, s15, s0
	s_delay_alu instid0(VALU_DEP_1) | instskip(SKIP_1) | instid1(VALU_DEP_2)
	v_lshlrev_b64 v[13:14], 2, v[13:14]
	v_cndmask_b32_e64 v19, 0x100, v15, s0
	v_add_co_u32 v15, s0, s12, v13
	s_delay_alu instid0(VALU_DEP_1) | instskip(SKIP_1) | instid1(VALU_DEP_1)
	v_add_co_ci_u32_e64 v16, s0, s13, v14, s0
	v_add_co_u32 v17, s0, s8, v13
	v_add_co_ci_u32_e64 v18, s0, s9, v14, s0
	v_add_co_u32 v13, s0, s10, v13
	s_delay_alu instid0(VALU_DEP_1)
	v_add_co_ci_u32_e64 v14, s0, s11, v14, s0
	global_store_b32 v[15:16], v12, off
	global_store_b32 v[17:18], v19, off
	;; [unrolled: 1-line block ×3, first 2 shown]
.LBB41_26:                              ;   in Loop: Header=BB41_6 Depth=1
	s_or_b32 exec_lo, exec_lo, s2
	v_ashrrev_i32_e32 v12, 31, v11
	s_add_i32 s7, s7, 1
	s_delay_alu instid0(SALU_CYCLE_1) | instskip(SKIP_1) | instid1(VALU_DEP_1)
	s_cmp_lt_i32 s7, s4
	s_cselect_b32 s1, -1, 0
	v_lshrrev_b32_e32 v13, 30, v12
	s_delay_alu instid0(VALU_DEP_1) | instskip(SKIP_1) | instid1(VALU_DEP_1)
	v_add_nc_u32_e32 v13, v11, v13
	s_waitcnt lgkmcnt(0)
	v_ashrrev_i32_e32 v14, 31, v13
	v_ashrrev_i32_e32 v13, 2, v13
	s_delay_alu instid0(VALU_DEP_2) | instskip(NEXT) | instid1(VALU_DEP_1)
	v_lshrrev_b32_e32 v14, 27, v14
	v_add_nc_u32_e32 v14, v13, v14
	s_delay_alu instid0(VALU_DEP_1) | instskip(NEXT) | instid1(VALU_DEP_1)
	v_and_b32_e32 v14, 0xffffffe0, v14
	v_sub_nc_u32_e32 v14, v13, v14
	s_delay_alu instid0(VALU_DEP_1) | instskip(NEXT) | instid1(VALU_DEP_1)
	v_cmp_eq_u32_e64 s0, v2, v14
	s_and_b32 s1, s1, s0
	s_delay_alu instid0(SALU_CYCLE_1)
	s_and_saveexec_b32 s0, s1
	s_cbranch_execz .LBB41_5
; %bb.27:                               ;   in Loop: Header=BB41_6 Depth=1
	v_lshrrev_b32_e32 v12, 25, v12
	v_lshlrev_b32_e32 v13, 2, v13
	s_delay_alu instid0(VALU_DEP_2) | instskip(NEXT) | instid1(VALU_DEP_2)
	v_add_nc_u32_e32 v12, v11, v12
	v_sub_nc_u32_e32 v11, v11, v13
	s_delay_alu instid0(VALU_DEP_2) | instskip(NEXT) | instid1(VALU_DEP_1)
	v_ashrrev_i32_e32 v12, 7, v12
	v_lshl_add_u32 v11, v12, 2, v11
	s_delay_alu instid0(VALU_DEP_1)
	v_lshl_add_u32 v11, v11, 2, v0
	ds_store_b32 v11, v10
	s_branch .LBB41_5
.LBB41_28:                              ;   in Loop: Header=BB41_6 Depth=1
	v_cmp_eq_f32_e64 s0, v12, v13
	s_waitcnt lgkmcnt(0)
	v_cmp_lt_i32_e64 s1, v14, v11
	s_delay_alu instid0(VALU_DEP_1) | instskip(SKIP_2) | instid1(SALU_CYCLE_1)
	s_and_b32 s0, s0, s1
	s_and_not1_b32 s1, s2, exec_lo
	s_and_b32 s0, s0, exec_lo
	s_or_b32 s2, s1, s0
	s_or_b32 exec_lo, exec_lo, s3
	s_and_saveexec_b32 s0, s2
	s_cbranch_execz .LBB41_24
.LBB41_29:                              ;   in Loop: Header=BB41_6 Depth=1
	s_waitcnt lgkmcnt(0)
	v_dual_mov_b32 v12, v13 :: v_dual_mov_b32 v11, v14
	s_or_b32 exec_lo, exec_lo, s0
	s_and_saveexec_b32 s2, vcc_lo
	s_cbranch_execnz .LBB41_25
	s_branch .LBB41_26
.LBB41_30:
	s_nop 0
	s_sendmsg sendmsg(MSG_DEALLOC_VGPRS)
	s_endpgm
	.section	.rodata,"a",@progbits
	.p2align	6, 0x0
	.amdhsa_kernel _ZN4vllm3moe17topkGatingSoftmaxILi8ELi256ELi4ELi16ELi32EjEEvPKfPKbPfiPT4_Piiii
		.amdhsa_group_segment_fixed_size 4096
		.amdhsa_private_segment_fixed_size 0
		.amdhsa_kernarg_size 60
		.amdhsa_user_sgpr_count 15
		.amdhsa_user_sgpr_dispatch_ptr 1
		.amdhsa_user_sgpr_queue_ptr 0
		.amdhsa_user_sgpr_kernarg_segment_ptr 1
		.amdhsa_user_sgpr_dispatch_id 0
		.amdhsa_user_sgpr_private_segment_size 0
		.amdhsa_wavefront_size32 1
		.amdhsa_uses_dynamic_stack 0
		.amdhsa_enable_private_segment 0
		.amdhsa_system_sgpr_workgroup_id_x 1
		.amdhsa_system_sgpr_workgroup_id_y 0
		.amdhsa_system_sgpr_workgroup_id_z 0
		.amdhsa_system_sgpr_workgroup_info 0
		.amdhsa_system_vgpr_workitem_id 2
		.amdhsa_next_free_vgpr 42
		.amdhsa_next_free_sgpr 16
		.amdhsa_reserve_vcc 1
		.amdhsa_float_round_mode_32 0
		.amdhsa_float_round_mode_16_64 0
		.amdhsa_float_denorm_mode_32 3
		.amdhsa_float_denorm_mode_16_64 3
		.amdhsa_dx10_clamp 1
		.amdhsa_ieee_mode 1
		.amdhsa_fp16_overflow 0
		.amdhsa_workgroup_processor_mode 1
		.amdhsa_memory_ordered 1
		.amdhsa_forward_progress 0
		.amdhsa_shared_vgpr_count 0
		.amdhsa_exception_fp_ieee_invalid_op 0
		.amdhsa_exception_fp_denorm_src 0
		.amdhsa_exception_fp_ieee_div_zero 0
		.amdhsa_exception_fp_ieee_overflow 0
		.amdhsa_exception_fp_ieee_underflow 0
		.amdhsa_exception_fp_ieee_inexact 0
		.amdhsa_exception_int_div_zero 0
	.end_amdhsa_kernel
	.section	.text._ZN4vllm3moe17topkGatingSoftmaxILi8ELi256ELi4ELi16ELi32EjEEvPKfPKbPfiPT4_Piiii,"axG",@progbits,_ZN4vllm3moe17topkGatingSoftmaxILi8ELi256ELi4ELi16ELi32EjEEvPKfPKbPfiPT4_Piiii,comdat
.Lfunc_end41:
	.size	_ZN4vllm3moe17topkGatingSoftmaxILi8ELi256ELi4ELi16ELi32EjEEvPKfPKbPfiPT4_Piiii, .Lfunc_end41-_ZN4vllm3moe17topkGatingSoftmaxILi8ELi256ELi4ELi16ELi32EjEEvPKfPKbPfiPT4_Piiii
                                        ; -- End function
	.section	.AMDGPU.csdata,"",@progbits
; Kernel info:
; codeLenInByte = 2820
; NumSgprs: 18
; NumVgprs: 42
; ScratchSize: 0
; MemoryBound: 0
; FloatMode: 240
; IeeeMode: 1
; LDSByteSize: 4096 bytes/workgroup (compile time only)
; SGPRBlocks: 2
; VGPRBlocks: 5
; NumSGPRsForWavesPerEU: 18
; NumVGPRsForWavesPerEU: 42
; Occupancy: 16
; WaveLimiterHint : 0
; COMPUTE_PGM_RSRC2:SCRATCH_EN: 0
; COMPUTE_PGM_RSRC2:USER_SGPR: 15
; COMPUTE_PGM_RSRC2:TRAP_HANDLER: 0
; COMPUTE_PGM_RSRC2:TGID_X_EN: 1
; COMPUTE_PGM_RSRC2:TGID_Y_EN: 0
; COMPUTE_PGM_RSRC2:TGID_Z_EN: 0
; COMPUTE_PGM_RSRC2:TIDIG_COMP_CNT: 2
	.section	.text._ZN4vllm3moe17topkGatingSoftmaxILi8ELi512ELi4ELi16ELi64EjEEvPKfPKbPfiPT4_Piiii,"axG",@progbits,_ZN4vllm3moe17topkGatingSoftmaxILi8ELi512ELi4ELi16ELi64EjEEvPKfPKbPfiPT4_Piiii,comdat
	.protected	_ZN4vllm3moe17topkGatingSoftmaxILi8ELi512ELi4ELi16ELi64EjEEvPKfPKbPfiPT4_Piiii ; -- Begin function _ZN4vllm3moe17topkGatingSoftmaxILi8ELi512ELi4ELi16ELi64EjEEvPKfPKbPfiPT4_Piiii
	.globl	_ZN4vllm3moe17topkGatingSoftmaxILi8ELi512ELi4ELi16ELi64EjEEvPKfPKbPfiPT4_Piiii
	.p2align	8
	.type	_ZN4vllm3moe17topkGatingSoftmaxILi8ELi512ELi4ELi16ELi64EjEEvPKfPKbPfiPT4_Piiii,@function
_ZN4vllm3moe17topkGatingSoftmaxILi8ELi512ELi4ELi16ELi64EjEEvPKfPKbPfiPT4_Piiii: ; @_ZN4vllm3moe17topkGatingSoftmaxILi8ELi512ELi4ELi16ELi64EjEEvPKfPKbPfiPT4_Piiii
; %bb.0:
	s_load_b32 s14, s[2:3], 0x18
	v_and_b32_e32 v10, 0x3ff, v0
	v_bfe_u32 v9, v0, 10, 10
	s_lshl_b32 s4, s15, 2
	s_delay_alu instid0(VALU_DEP_2) | instskip(NEXT) | instid1(VALU_DEP_1)
	v_lshrrev_b32_e32 v1, 6, v10
	v_add3_u32 v1, s4, v9, v1
	s_mov_b32 s4, exec_lo
	s_waitcnt lgkmcnt(0)
	s_delay_alu instid0(VALU_DEP_1)
	v_cmpx_gt_i32_e64 s14, v1
	s_cbranch_execz .LBB42_34
; %bb.1:
	s_clause 0x1
	s_load_b128 s[4:7], s[2:3], 0x0
	s_load_b64 s[12:13], s[2:3], 0x10
	s_mov_b32 s15, -1
	s_waitcnt lgkmcnt(0)
	s_cmp_eq_u64 s[6:7], 0
	s_cbranch_scc1 .LBB42_3
; %bb.2:
	v_ashrrev_i32_e32 v3, 31, v1
	v_add_co_u32 v2, vcc_lo, s6, v1
	s_delay_alu instid0(VALU_DEP_2) | instskip(SKIP_3) | instid1(VALU_DEP_1)
	v_add_co_ci_u32_e32 v3, vcc_lo, s7, v3, vcc_lo
	global_load_u8 v2, v[2:3], off
	s_waitcnt vmcnt(0)
	v_and_b32_e32 v2, 1, v2
	v_cmp_eq_u32_e32 vcc_lo, 1, v2
	s_xor_b32 s6, vcc_lo, -1
	s_delay_alu instid0(SALU_CYCLE_1)
	s_or_not1_b32 s15, s6, exec_lo
.LBB42_3:
	v_lshlrev_b32_e32 v3, 9, v1
	v_and_b32_e32 v2, 63, v10
	v_mbcnt_lo_u32_b32 v8, -1, 0
	s_load_b64 s[0:1], s[0:1], 0x4
	v_bfe_u32 v0, v0, 20, 10
	v_ashrrev_i32_e32 v4, 31, v3
	v_lshlrev_b32_e32 v5, 4, v2
	v_xor_b32_e32 v6, 16, v8
	s_delay_alu instid0(VALU_DEP_3) | instskip(NEXT) | instid1(VALU_DEP_1)
	v_lshlrev_b64 v[3:4], 2, v[3:4]
	v_add_co_u32 v3, vcc_lo, s4, v3
	s_delay_alu instid0(VALU_DEP_2) | instskip(SKIP_1) | instid1(VALU_DEP_2)
	v_add_co_ci_u32_e32 v4, vcc_lo, s5, v4, vcc_lo
	s_load_b128 s[4:7], s[2:3], 0x30
	v_add_co_u32 v3, vcc_lo, v3, v5
	s_delay_alu instid0(VALU_DEP_2)
	v_add_co_ci_u32_e32 v4, vcc_lo, 0, v4, vcc_lo
	s_waitcnt lgkmcnt(0)
	s_lshr_b32 s0, s0, 16
	s_mov_b32 s7, 0
	s_mul_i32 s0, s0, s1
	s_clause 0x1
	global_load_b128 v[11:14], v[3:4], off
	global_load_b128 v[15:18], v[3:4], off offset:1024
	v_mul_lo_u32 v10, s0, v10
	s_delay_alu instid0(VALU_DEP_1) | instskip(SKIP_1) | instid1(VALU_DEP_1)
	v_mad_u32_u24 v9, v9, s1, v10
	s_cmp_lt_i32 s4, 1
	v_add_lshl_u32 v0, v9, v0, 5
	s_waitcnt vmcnt(1)
	v_dual_max_f32 v3, v12, v12 :: v_dual_max_f32 v4, v11, v11
	s_delay_alu instid0(VALU_DEP_1) | instskip(SKIP_1) | instid1(VALU_DEP_2)
	v_max_f32_e32 v3, v4, v3
	v_or_b32_e32 v4, 32, v8
	v_max3_f32 v3, v3, v13, v14
	s_delay_alu instid0(VALU_DEP_2) | instskip(SKIP_1) | instid1(VALU_DEP_2)
	v_cmp_gt_i32_e32 vcc_lo, 64, v4
	s_waitcnt vmcnt(0)
	v_max3_f32 v5, v3, v15, v16
	v_cndmask_b32_e32 v4, v8, v4, vcc_lo
	v_cmp_gt_i32_e32 vcc_lo, 64, v6
	s_delay_alu instid0(VALU_DEP_3) | instskip(NEXT) | instid1(VALU_DEP_3)
	v_max3_f32 v5, v5, v17, v18
	v_dual_cndmask_b32 v6, v8, v6 :: v_dual_lshlrev_b32 v3, 2, v4
	ds_bpermute_b32 v4, v3, v5
	s_waitcnt lgkmcnt(0)
	v_dual_max_f32 v7, v4, v4 :: v_dual_lshlrev_b32 v4, 2, v6
	s_delay_alu instid0(VALU_DEP_1)
	v_max_f32_e32 v6, v5, v7
	v_xor_b32_e32 v7, 8, v8
	ds_bpermute_b32 v5, v4, v6
	v_cmp_gt_i32_e32 vcc_lo, 64, v7
	v_cndmask_b32_e32 v7, v8, v7, vcc_lo
	s_waitcnt lgkmcnt(0)
	v_max_f32_e32 v19, v5, v5
	s_delay_alu instid0(VALU_DEP_2) | instskip(NEXT) | instid1(VALU_DEP_2)
	v_lshlrev_b32_e32 v5, 2, v7
	v_max_f32_e32 v7, v6, v19
	v_xor_b32_e32 v19, 4, v8
	ds_bpermute_b32 v6, v5, v7
	v_cmp_gt_i32_e32 vcc_lo, 64, v19
	s_waitcnt lgkmcnt(0)
	v_dual_cndmask_b32 v19, v8, v19 :: v_dual_max_f32 v20, v6, v6
	s_delay_alu instid0(VALU_DEP_1)
	v_dual_max_f32 v19, v7, v20 :: v_dual_lshlrev_b32 v6, 2, v19
	v_xor_b32_e32 v20, 2, v8
	ds_bpermute_b32 v7, v6, v19
	v_cmp_gt_i32_e32 vcc_lo, 64, v20
	s_waitcnt lgkmcnt(0)
	v_dual_cndmask_b32 v20, v8, v20 :: v_dual_max_f32 v21, v7, v7
	s_delay_alu instid0(VALU_DEP_1) | instskip(NEXT) | instid1(VALU_DEP_2)
	v_lshlrev_b32_e32 v7, 2, v20
	v_max_f32_e32 v19, v19, v21
	v_xor_b32_e32 v21, 1, v8
	ds_bpermute_b32 v20, v7, v19
	v_cmp_gt_i32_e32 vcc_lo, 64, v21
	v_cndmask_b32_e32 v8, v8, v21, vcc_lo
	s_delay_alu instid0(VALU_DEP_1) | instskip(SKIP_2) | instid1(VALU_DEP_1)
	v_lshlrev_b32_e32 v8, 2, v8
	s_waitcnt lgkmcnt(0)
	v_max_f32_e32 v20, v20, v20
	v_max_f32_e32 v19, v19, v20
	ds_bpermute_b32 v20, v8, v19
	s_waitcnt lgkmcnt(0)
	v_max_f32_e32 v20, v20, v20
	s_delay_alu instid0(VALU_DEP_1) | instskip(NEXT) | instid1(VALU_DEP_1)
	v_max_f32_e32 v19, v19, v20
	v_sub_f32_e32 v18, v18, v19
	s_delay_alu instid0(VALU_DEP_1) | instskip(SKIP_3) | instid1(VALU_DEP_4)
	v_mul_f32_e32 v26, 0x3fb8aa3b, v18
	v_sub_f32_e32 v12, v12, v19
	v_sub_f32_e32 v17, v17, v19
	v_sub_f32_e32 v16, v16, v19
	v_rndne_f32_e32 v42, v26
	s_delay_alu instid0(VALU_DEP_3) | instskip(NEXT) | instid1(VALU_DEP_3)
	v_dual_mul_f32 v20, 0x3fb8aa3b, v12 :: v_dual_mul_f32 v25, 0x3fb8aa3b, v17
	v_dual_sub_f32 v11, v11, v19 :: v_dual_mul_f32 v24, 0x3fb8aa3b, v16
	s_delay_alu instid0(VALU_DEP_2) | instskip(SKIP_2) | instid1(VALU_DEP_4)
	v_rndne_f32_e32 v30, v20
	v_sub_f32_e32 v13, v13, v19
	v_fma_f32 v29, 0x3fb8aa3b, v12, -v20
	v_fma_f32 v37, 0x3fb8aa3b, v16, -v24
	v_rndne_f32_e32 v38, v24
	v_sub_f32_e32 v20, v20, v30
	v_dual_sub_f32 v14, v14, v19 :: v_dual_mul_f32 v21, 0x3fb8aa3b, v13
	s_delay_alu instid0(VALU_DEP_3) | instskip(SKIP_1) | instid1(VALU_DEP_3)
	v_dual_fmac_f32 v37, 0x32a5705f, v16 :: v_dual_sub_f32 v24, v24, v38
	v_fmac_f32_e32 v29, 0x32a5705f, v12
	v_mul_f32_e32 v22, 0x3fb8aa3b, v14
	s_delay_alu instid0(VALU_DEP_4)
	v_fma_f32 v31, 0x3fb8aa3b, v13, -v21
	v_rndne_f32_e32 v32, v21
	v_add_f32_e32 v24, v24, v37
	v_cvt_i32_f32_e32 v30, v30
	v_rndne_f32_e32 v34, v22
	v_sub_f32_e32 v15, v15, v19
	v_mul_f32_e32 v19, 0x3fb8aa3b, v11
	v_fma_f32 v33, 0x3fb8aa3b, v14, -v22
	v_add_f32_e32 v20, v20, v29
	s_delay_alu instid0(VALU_DEP_4) | instskip(NEXT) | instid1(VALU_DEP_4)
	v_dual_sub_f32 v22, v22, v34 :: v_dual_mul_f32 v23, 0x3fb8aa3b, v15
	v_fma_f32 v27, 0x3fb8aa3b, v11, -v19
	v_rndne_f32_e32 v28, v19
	v_fmac_f32_e32 v33, 0x32a5705f, v14
	v_exp_f32_e32 v20, v20
	v_cmp_ngt_f32_e32 vcc_lo, 0xc2ce8ed0, v11
	v_fmac_f32_e32 v27, 0x32a5705f, v11
	s_delay_alu instid0(VALU_DEP_3) | instskip(SKIP_2) | instid1(VALU_DEP_3)
	v_dual_sub_f32 v19, v19, v28 :: v_dual_add_f32 v22, v22, v33
	v_cvt_i32_f32_e32 v28, v28
	v_fma_f32 v41, 0x3fb8aa3b, v18, -v26
	v_dual_sub_f32 v26, v26, v42 :: v_dual_add_f32 v19, v19, v27
	s_delay_alu instid0(VALU_DEP_4) | instskip(NEXT) | instid1(TRANS32_DEP_2)
	v_exp_f32_e32 v22, v22
	v_ldexp_f32 v20, v20, v30
	s_delay_alu instid0(VALU_DEP_3)
	v_fmac_f32_e32 v41, 0x32a5705f, v18
	v_sub_f32_e32 v21, v21, v32
	v_exp_f32_e32 v19, v19
	v_cvt_i32_f32_e32 v32, v32
	v_cvt_i32_f32_e32 v34, v34
	v_add_f32_e32 v26, v26, v41
	v_exp_f32_e32 v24, v24
	v_fma_f32 v35, 0x3fb8aa3b, v15, -v23
	v_rndne_f32_e32 v36, v23
	v_cvt_i32_f32_e32 v38, v38
	v_ldexp_f32 v22, v22, v34
	v_fma_f32 v39, 0x3fb8aa3b, v17, -v25
	v_ldexp_f32 v19, v19, v28
	v_rndne_f32_e32 v40, v25
	v_exp_f32_e32 v26, v26
	v_cvt_i32_f32_e32 v29, v42
	v_ldexp_f32 v24, v24, v38
	v_cndmask_b32_e32 v19, 0, v19, vcc_lo
	v_cmp_ngt_f32_e32 vcc_lo, 0xc2ce8ed0, v12
	v_fmac_f32_e32 v31, 0x32a5705f, v13
	v_fmac_f32_e32 v35, 0x32a5705f, v15
	v_sub_f32_e32 v25, v25, v40
	v_cvt_i32_f32_e32 v27, v40
	s_delay_alu instid0(VALU_DEP_4) | instskip(SKIP_2) | instid1(VALU_DEP_3)
	v_dual_cndmask_b32 v20, 0, v20 :: v_dual_add_f32 v21, v21, v31
	v_cmp_ngt_f32_e32 vcc_lo, 0xc2ce8ed0, v13
	v_ldexp_f32 v26, v26, v29
	v_exp_f32_e32 v21, v21
	s_waitcnt_depctr 0xfff
	v_ldexp_f32 v21, v21, v32
	s_delay_alu instid0(VALU_DEP_1)
	v_cndmask_b32_e32 v21, 0, v21, vcc_lo
	v_cmp_nlt_f32_e32 vcc_lo, 0x42b17218, v11
	v_cndmask_b32_e32 v11, 0x7f800000, v19, vcc_lo
	v_cmp_nlt_f32_e32 vcc_lo, 0x42b17218, v12
	v_cndmask_b32_e32 v12, 0x7f800000, v20, vcc_lo
	v_cmp_ngt_f32_e32 vcc_lo, 0xc2ce8ed0, v14
	s_delay_alu instid0(VALU_DEP_2) | instskip(SKIP_4) | instid1(VALU_DEP_3)
	v_dual_fmac_f32 v39, 0x32a5705f, v17 :: v_dual_add_f32 v20, v11, v12
	v_cndmask_b32_e32 v19, 0, v22, vcc_lo
	v_sub_f32_e32 v23, v23, v36
	v_cvt_i32_f32_e32 v36, v36
	v_cmp_nlt_f32_e32 vcc_lo, 0x42b17218, v13
	v_add_f32_e32 v23, v23, v35
	v_cndmask_b32_e32 v13, 0x7f800000, v21, vcc_lo
	v_cmp_ngt_f32_e32 vcc_lo, 0xc2ce8ed0, v15
	s_delay_alu instid0(VALU_DEP_3) | instskip(SKIP_2) | instid1(VALU_DEP_1)
	v_exp_f32_e32 v23, v23
	s_waitcnt_depctr 0xfff
	v_ldexp_f32 v23, v23, v36
	v_cndmask_b32_e32 v21, 0, v23, vcc_lo
	v_cmp_nlt_f32_e32 vcc_lo, 0x42b17218, v14
	v_cndmask_b32_e32 v14, 0x7f800000, v19, vcc_lo
	v_add_f32_e32 v25, v25, v39
	v_cmp_ngt_f32_e32 vcc_lo, 0xc2ce8ed0, v16
	v_add_f32_e32 v19, v20, v13
	s_delay_alu instid0(VALU_DEP_3) | instskip(SKIP_2) | instid1(VALU_DEP_3)
	v_exp_f32_e32 v25, v25
	v_cndmask_b32_e32 v20, 0, v24, vcc_lo
	v_cmp_nlt_f32_e32 vcc_lo, 0x42b17218, v15
	v_add_f32_e32 v19, v19, v14
	v_cndmask_b32_e32 v15, 0x7f800000, v21, vcc_lo
	v_cmp_ngt_f32_e32 vcc_lo, 0xc2ce8ed0, v17
	s_waitcnt_depctr 0xfff
	v_ldexp_f32 v25, v25, v27
	v_add_f32_e32 v19, v19, v15
	s_delay_alu instid0(VALU_DEP_2) | instskip(SKIP_3) | instid1(VALU_DEP_2)
	v_cndmask_b32_e32 v21, 0, v25, vcc_lo
	v_cmp_nlt_f32_e32 vcc_lo, 0x42b17218, v16
	v_cndmask_b32_e32 v16, 0x7f800000, v20, vcc_lo
	v_cmp_ngt_f32_e32 vcc_lo, 0xc2ce8ed0, v18
	v_dual_add_f32 v19, v19, v16 :: v_dual_cndmask_b32 v20, 0, v26
	v_cmp_nlt_f32_e32 vcc_lo, 0x42b17218, v17
	v_cndmask_b32_e32 v17, 0x7f800000, v21, vcc_lo
	v_cmp_nlt_f32_e32 vcc_lo, 0x42b17218, v18
	s_delay_alu instid0(VALU_DEP_2) | instskip(NEXT) | instid1(VALU_DEP_1)
	v_dual_add_f32 v19, v19, v17 :: v_dual_cndmask_b32 v18, 0x7f800000, v20
	v_add_f32_e32 v19, v19, v18
	ds_bpermute_b32 v20, v3, v19
	s_waitcnt lgkmcnt(0)
	v_add_f32_e32 v19, v19, v20
	ds_bpermute_b32 v20, v4, v19
	s_waitcnt lgkmcnt(0)
	;; [unrolled: 3-line block ×6, first 2 shown]
	v_add_f32_e32 v19, v19, v20
	s_delay_alu instid0(VALU_DEP_1) | instskip(SKIP_1) | instid1(VALU_DEP_2)
	v_div_scale_f32 v20, null, v19, v19, 1.0
	v_div_scale_f32 v23, vcc_lo, 1.0, v19, 1.0
	v_rcp_f32_e32 v21, v20
	s_waitcnt_depctr 0xfff
	v_fma_f32 v22, -v20, v21, 1.0
	s_delay_alu instid0(VALU_DEP_1) | instskip(NEXT) | instid1(VALU_DEP_1)
	v_fmac_f32_e32 v21, v22, v21
	v_mul_f32_e32 v22, v23, v21
	s_delay_alu instid0(VALU_DEP_1) | instskip(NEXT) | instid1(VALU_DEP_1)
	v_fma_f32 v24, -v20, v22, v23
	v_fmac_f32_e32 v22, v24, v21
	s_delay_alu instid0(VALU_DEP_1) | instskip(NEXT) | instid1(VALU_DEP_1)
	v_fma_f32 v20, -v20, v22, v23
	v_div_fmas_f32 v20, v20, v21, v22
	s_delay_alu instid0(VALU_DEP_1) | instskip(NEXT) | instid1(VALU_DEP_1)
	v_div_fixup_f32 v19, v20, v19, 1.0
	v_mul_f32_e32 v10, v19, v12
	v_mul_f32_e32 v12, v19, v14
	;; [unrolled: 1-line block ×8, first 2 shown]
	ds_store_b128 v0, v[9:12]
	ds_store_b128 v0, v[13:16] offset:16
	s_cbranch_scc1 .LBB42_34
; %bb.4:
	s_load_b128 s[8:11], s[2:3], 0x20
	v_mul_lo_u32 v9, v1, s4
	v_dual_mov_b32 v11, 0xc61c4000 :: v_dual_lshlrev_b32 v10, 2, v2
	v_cmp_eq_u32_e32 vcc_lo, 0, v2
	s_branch .LBB42_6
.LBB42_5:                               ;   in Loop: Header=BB42_6 Depth=1
	s_or_b32 exec_lo, exec_lo, s0
	v_add_nc_u32_e32 v1, s14, v1
	s_cmp_lg_u32 s4, s7
	s_cbranch_scc0 .LBB42_34
.LBB42_6:                               ; =>This Inner Loop Header: Depth=1
	ds_load_b128 v[12:15], v0
	ds_load_b128 v[16:19], v0 offset:16
	s_mov_b32 s3, exec_lo
	s_waitcnt lgkmcnt(0)
	v_cmp_gt_f32_e64 s0, v13, v12
	s_delay_alu instid0(VALU_DEP_1) | instskip(SKIP_1) | instid1(VALU_DEP_2)
	v_cndmask_b32_e64 v12, v12, v13, s0
	v_cndmask_b32_e64 v13, 0, 1, s0
	v_cmp_gt_f32_e64 s0, v14, v12
	s_delay_alu instid0(VALU_DEP_1) | instskip(NEXT) | instid1(VALU_DEP_3)
	v_cndmask_b32_e64 v12, v12, v14, s0
	v_cndmask_b32_e64 v13, v13, 2, s0
	s_delay_alu instid0(VALU_DEP_2) | instskip(NEXT) | instid1(VALU_DEP_1)
	v_cmp_gt_f32_e64 s0, v15, v12
	v_cndmask_b32_e64 v12, v12, v15, s0
	s_delay_alu instid0(VALU_DEP_3) | instskip(NEXT) | instid1(VALU_DEP_2)
	v_cndmask_b32_e64 v13, v13, 3, s0
	v_cmp_gt_f32_e64 s0, v16, v12
	s_delay_alu instid0(VALU_DEP_1) | instskip(NEXT) | instid1(VALU_DEP_3)
	v_cndmask_b32_e64 v12, v12, v16, s0
	v_cndmask_b32_e64 v13, v13, 0x100, s0
	s_delay_alu instid0(VALU_DEP_2) | instskip(NEXT) | instid1(VALU_DEP_1)
	v_cmp_gt_f32_e64 s0, v17, v12
	v_cndmask_b32_e64 v12, v12, v17, s0
	s_delay_alu instid0(VALU_DEP_3) | instskip(NEXT) | instid1(VALU_DEP_2)
	v_cndmask_b32_e64 v13, v13, 0x101, s0
	v_cmp_gt_f32_e64 s0, v18, v12
	s_delay_alu instid0(VALU_DEP_1) | instskip(NEXT) | instid1(VALU_DEP_3)
	v_cndmask_b32_e64 v12, v12, v18, s0
	v_cndmask_b32_e64 v14, v13, 0x102, s0
	s_delay_alu instid0(VALU_DEP_2) | instskip(NEXT) | instid1(VALU_DEP_1)
	v_cmp_gt_f32_e64 s0, v19, v12
	v_cndmask_b32_e64 v13, v12, v19, s0
	s_delay_alu instid0(VALU_DEP_3)
	v_cndmask_b32_e64 v12, v14, 0x103, s0
	ds_bpermute_b32 v14, v3, v13
	v_or_b32_e32 v12, v10, v12
	ds_bpermute_b32 v15, v3, v12
	s_waitcnt lgkmcnt(1)
	v_cmp_lt_f32_e64 s2, v13, v14
	v_cmpx_nlt_f32_e32 v13, v14
	s_cbranch_execz .LBB42_8
; %bb.7:                                ;   in Loop: Header=BB42_6 Depth=1
	v_cmp_eq_f32_e64 s0, v13, v14
	s_waitcnt lgkmcnt(0)
	v_cmp_lt_i32_e64 s1, v15, v12
	s_delay_alu instid0(VALU_DEP_1) | instskip(SKIP_2) | instid1(SALU_CYCLE_1)
	s_and_b32 s0, s0, s1
	s_and_not1_b32 s1, s2, exec_lo
	s_and_b32 s0, s0, exec_lo
	s_or_b32 s2, s1, s0
.LBB42_8:                               ;   in Loop: Header=BB42_6 Depth=1
	s_or_b32 exec_lo, exec_lo, s3
	s_delay_alu instid0(VALU_DEP_2)
	s_and_saveexec_b32 s0, s2
	s_cbranch_execz .LBB42_10
; %bb.9:                                ;   in Loop: Header=BB42_6 Depth=1
	s_waitcnt lgkmcnt(0)
	v_dual_mov_b32 v13, v14 :: v_dual_mov_b32 v12, v15
.LBB42_10:                              ;   in Loop: Header=BB42_6 Depth=1
	s_or_b32 exec_lo, exec_lo, s0
	s_waitcnt lgkmcnt(0)
	ds_bpermute_b32 v15, v4, v13
	ds_bpermute_b32 v14, v4, v12
	s_mov_b32 s3, exec_lo
	s_waitcnt lgkmcnt(1)
	v_cmp_lt_f32_e64 s2, v13, v15
	v_cmpx_nlt_f32_e32 v13, v15
	s_cbranch_execz .LBB42_12
; %bb.11:                               ;   in Loop: Header=BB42_6 Depth=1
	v_cmp_eq_f32_e64 s0, v13, v15
	s_waitcnt lgkmcnt(0)
	v_cmp_lt_i32_e64 s1, v14, v12
	s_delay_alu instid0(VALU_DEP_1) | instskip(SKIP_2) | instid1(SALU_CYCLE_1)
	s_and_b32 s0, s0, s1
	s_and_not1_b32 s1, s2, exec_lo
	s_and_b32 s0, s0, exec_lo
	s_or_b32 s2, s1, s0
.LBB42_12:                              ;   in Loop: Header=BB42_6 Depth=1
	s_or_b32 exec_lo, exec_lo, s3
	s_delay_alu instid0(VALU_DEP_2)
	s_and_saveexec_b32 s0, s2
	s_cbranch_execz .LBB42_14
; %bb.13:                               ;   in Loop: Header=BB42_6 Depth=1
	s_waitcnt lgkmcnt(0)
	v_dual_mov_b32 v13, v15 :: v_dual_mov_b32 v12, v14
.LBB42_14:                              ;   in Loop: Header=BB42_6 Depth=1
	s_or_b32 exec_lo, exec_lo, s0
	ds_bpermute_b32 v15, v5, v13
	s_waitcnt lgkmcnt(1)
	ds_bpermute_b32 v14, v5, v12
	s_mov_b32 s3, exec_lo
	s_waitcnt lgkmcnt(1)
	v_cmp_lt_f32_e64 s2, v13, v15
	v_cmpx_nlt_f32_e32 v13, v15
	s_cbranch_execz .LBB42_16
; %bb.15:                               ;   in Loop: Header=BB42_6 Depth=1
	v_cmp_eq_f32_e64 s0, v13, v15
	s_waitcnt lgkmcnt(0)
	v_cmp_lt_i32_e64 s1, v14, v12
	s_delay_alu instid0(VALU_DEP_1) | instskip(SKIP_2) | instid1(SALU_CYCLE_1)
	s_and_b32 s0, s0, s1
	s_and_not1_b32 s1, s2, exec_lo
	s_and_b32 s0, s0, exec_lo
	s_or_b32 s2, s1, s0
.LBB42_16:                              ;   in Loop: Header=BB42_6 Depth=1
	s_or_b32 exec_lo, exec_lo, s3
	s_delay_alu instid0(VALU_DEP_2)
	s_and_saveexec_b32 s0, s2
	s_cbranch_execz .LBB42_18
; %bb.17:                               ;   in Loop: Header=BB42_6 Depth=1
	s_waitcnt lgkmcnt(0)
	v_dual_mov_b32 v13, v15 :: v_dual_mov_b32 v12, v14
.LBB42_18:                              ;   in Loop: Header=BB42_6 Depth=1
	s_or_b32 exec_lo, exec_lo, s0
	ds_bpermute_b32 v15, v6, v13
	s_waitcnt lgkmcnt(1)
	;; [unrolled: 27-line block ×3, first 2 shown]
	ds_bpermute_b32 v14, v7, v12
	s_mov_b32 s3, exec_lo
	s_waitcnt lgkmcnt(1)
	v_cmp_lt_f32_e64 s2, v13, v15
	v_cmpx_nlt_f32_e32 v13, v15
	s_cbranch_execz .LBB42_24
; %bb.23:                               ;   in Loop: Header=BB42_6 Depth=1
	v_cmp_eq_f32_e64 s0, v13, v15
	s_waitcnt lgkmcnt(0)
	v_cmp_lt_i32_e64 s1, v14, v12
	s_delay_alu instid0(VALU_DEP_1) | instskip(SKIP_2) | instid1(SALU_CYCLE_1)
	s_and_b32 s0, s0, s1
	s_and_not1_b32 s1, s2, exec_lo
	s_and_b32 s0, s0, exec_lo
	s_or_b32 s2, s1, s0
.LBB42_24:                              ;   in Loop: Header=BB42_6 Depth=1
	s_or_b32 exec_lo, exec_lo, s3
	s_delay_alu instid0(VALU_DEP_2)
	s_and_saveexec_b32 s0, s2
	s_cbranch_execz .LBB42_26
; %bb.25:                               ;   in Loop: Header=BB42_6 Depth=1
	s_waitcnt lgkmcnt(0)
	v_dual_mov_b32 v13, v15 :: v_dual_mov_b32 v12, v14
.LBB42_26:                              ;   in Loop: Header=BB42_6 Depth=1
	s_or_b32 exec_lo, exec_lo, s0
	s_waitcnt lgkmcnt(0)
	ds_bpermute_b32 v14, v8, v13
	ds_bpermute_b32 v15, v8, v12
	s_mov_b32 s3, exec_lo
	s_waitcnt lgkmcnt(1)
	v_cmp_lt_f32_e64 s2, v13, v14
	v_cmpx_nlt_f32_e32 v13, v14
	s_cbranch_execnz .LBB42_32
; %bb.27:                               ;   in Loop: Header=BB42_6 Depth=1
	s_or_b32 exec_lo, exec_lo, s3
	s_delay_alu instid0(VALU_DEP_2)
	s_and_saveexec_b32 s0, s2
	s_cbranch_execnz .LBB42_33
.LBB42_28:                              ;   in Loop: Header=BB42_6 Depth=1
	s_or_b32 exec_lo, exec_lo, s0
	s_and_saveexec_b32 s2, vcc_lo
	s_cbranch_execz .LBB42_30
.LBB42_29:                              ;   in Loop: Header=BB42_6 Depth=1
	v_add_nc_u32_e32 v14, s7, v9
	v_cmp_le_i32_e64 s0, s5, v12
	v_cmp_gt_i32_e64 s1, s6, v12
	v_subrev_nc_u32_e32 v16, s5, v12
	s_waitcnt lgkmcnt(0)
	v_ashrrev_i32_e32 v15, 31, v14
	s_delay_alu instid0(VALU_DEP_3) | instskip(NEXT) | instid1(SALU_CYCLE_1)
	s_and_b32 s0, s0, s1
	s_and_b32 s0, s15, s0
	s_delay_alu instid0(VALU_DEP_1) | instskip(SKIP_1) | instid1(VALU_DEP_2)
	v_lshlrev_b64 v[14:15], 2, v[14:15]
	v_cndmask_b32_e64 v20, 0x200, v16, s0
	v_add_co_u32 v16, s0, s12, v14
	s_delay_alu instid0(VALU_DEP_1) | instskip(SKIP_1) | instid1(VALU_DEP_1)
	v_add_co_ci_u32_e64 v17, s0, s13, v15, s0
	v_add_co_u32 v18, s0, s8, v14
	v_add_co_ci_u32_e64 v19, s0, s9, v15, s0
	v_add_co_u32 v14, s0, s10, v14
	s_delay_alu instid0(VALU_DEP_1)
	v_add_co_ci_u32_e64 v15, s0, s11, v15, s0
	global_store_b32 v[16:17], v13, off
	global_store_b32 v[18:19], v20, off
	;; [unrolled: 1-line block ×3, first 2 shown]
.LBB42_30:                              ;   in Loop: Header=BB42_6 Depth=1
	s_or_b32 exec_lo, exec_lo, s2
	v_ashrrev_i32_e32 v13, 31, v12
	s_add_i32 s7, s7, 1
	s_delay_alu instid0(SALU_CYCLE_1) | instskip(SKIP_1) | instid1(VALU_DEP_1)
	s_cmp_lt_i32 s7, s4
	s_cselect_b32 s1, -1, 0
	v_lshrrev_b32_e32 v14, 30, v13
	s_delay_alu instid0(VALU_DEP_1) | instskip(SKIP_1) | instid1(VALU_DEP_1)
	v_add_nc_u32_e32 v14, v12, v14
	s_waitcnt lgkmcnt(0)
	v_ashrrev_i32_e32 v15, 31, v14
	v_ashrrev_i32_e32 v14, 2, v14
	s_delay_alu instid0(VALU_DEP_2) | instskip(NEXT) | instid1(VALU_DEP_1)
	v_lshrrev_b32_e32 v15, 26, v15
	v_add_nc_u32_e32 v15, v14, v15
	s_delay_alu instid0(VALU_DEP_1) | instskip(NEXT) | instid1(VALU_DEP_1)
	v_and_b32_e32 v15, 0xffffffc0, v15
	v_sub_nc_u32_e32 v15, v14, v15
	s_delay_alu instid0(VALU_DEP_1) | instskip(NEXT) | instid1(VALU_DEP_1)
	v_cmp_eq_u32_e64 s0, v2, v15
	s_and_b32 s1, s1, s0
	s_delay_alu instid0(SALU_CYCLE_1)
	s_and_saveexec_b32 s0, s1
	s_cbranch_execz .LBB42_5
; %bb.31:                               ;   in Loop: Header=BB42_6 Depth=1
	v_lshrrev_b32_e32 v13, 24, v13
	v_lshlrev_b32_e32 v14, 2, v14
	s_delay_alu instid0(VALU_DEP_2) | instskip(NEXT) | instid1(VALU_DEP_2)
	v_add_nc_u32_e32 v13, v12, v13
	v_sub_nc_u32_e32 v12, v12, v14
	s_delay_alu instid0(VALU_DEP_2) | instskip(NEXT) | instid1(VALU_DEP_1)
	v_ashrrev_i32_e32 v13, 8, v13
	v_lshl_add_u32 v12, v13, 2, v12
	s_delay_alu instid0(VALU_DEP_1)
	v_lshl_add_u32 v12, v12, 2, v0
	ds_store_b32 v12, v11
	s_branch .LBB42_5
.LBB42_32:                              ;   in Loop: Header=BB42_6 Depth=1
	v_cmp_eq_f32_e64 s0, v13, v14
	s_waitcnt lgkmcnt(0)
	v_cmp_lt_i32_e64 s1, v15, v12
	s_delay_alu instid0(VALU_DEP_1) | instskip(SKIP_2) | instid1(SALU_CYCLE_1)
	s_and_b32 s0, s0, s1
	s_and_not1_b32 s1, s2, exec_lo
	s_and_b32 s0, s0, exec_lo
	s_or_b32 s2, s1, s0
	s_or_b32 exec_lo, exec_lo, s3
	s_and_saveexec_b32 s0, s2
	s_cbranch_execz .LBB42_28
.LBB42_33:                              ;   in Loop: Header=BB42_6 Depth=1
	s_waitcnt lgkmcnt(0)
	v_dual_mov_b32 v13, v14 :: v_dual_mov_b32 v12, v15
	s_or_b32 exec_lo, exec_lo, s0
	s_and_saveexec_b32 s2, vcc_lo
	s_cbranch_execnz .LBB42_29
	s_branch .LBB42_30
.LBB42_34:
	s_nop 0
	s_sendmsg sendmsg(MSG_DEALLOC_VGPRS)
	s_endpgm
	.section	.rodata,"a",@progbits
	.p2align	6, 0x0
	.amdhsa_kernel _ZN4vllm3moe17topkGatingSoftmaxILi8ELi512ELi4ELi16ELi64EjEEvPKfPKbPfiPT4_Piiii
		.amdhsa_group_segment_fixed_size 8192
		.amdhsa_private_segment_fixed_size 0
		.amdhsa_kernarg_size 60
		.amdhsa_user_sgpr_count 15
		.amdhsa_user_sgpr_dispatch_ptr 1
		.amdhsa_user_sgpr_queue_ptr 0
		.amdhsa_user_sgpr_kernarg_segment_ptr 1
		.amdhsa_user_sgpr_dispatch_id 0
		.amdhsa_user_sgpr_private_segment_size 0
		.amdhsa_wavefront_size32 1
		.amdhsa_uses_dynamic_stack 0
		.amdhsa_enable_private_segment 0
		.amdhsa_system_sgpr_workgroup_id_x 1
		.amdhsa_system_sgpr_workgroup_id_y 0
		.amdhsa_system_sgpr_workgroup_id_z 0
		.amdhsa_system_sgpr_workgroup_info 0
		.amdhsa_system_vgpr_workitem_id 2
		.amdhsa_next_free_vgpr 43
		.amdhsa_next_free_sgpr 16
		.amdhsa_reserve_vcc 1
		.amdhsa_float_round_mode_32 0
		.amdhsa_float_round_mode_16_64 0
		.amdhsa_float_denorm_mode_32 3
		.amdhsa_float_denorm_mode_16_64 3
		.amdhsa_dx10_clamp 1
		.amdhsa_ieee_mode 1
		.amdhsa_fp16_overflow 0
		.amdhsa_workgroup_processor_mode 1
		.amdhsa_memory_ordered 1
		.amdhsa_forward_progress 0
		.amdhsa_shared_vgpr_count 0
		.amdhsa_exception_fp_ieee_invalid_op 0
		.amdhsa_exception_fp_denorm_src 0
		.amdhsa_exception_fp_ieee_div_zero 0
		.amdhsa_exception_fp_ieee_overflow 0
		.amdhsa_exception_fp_ieee_underflow 0
		.amdhsa_exception_fp_ieee_inexact 0
		.amdhsa_exception_int_div_zero 0
	.end_amdhsa_kernel
	.section	.text._ZN4vllm3moe17topkGatingSoftmaxILi8ELi512ELi4ELi16ELi64EjEEvPKfPKbPfiPT4_Piiii,"axG",@progbits,_ZN4vllm3moe17topkGatingSoftmaxILi8ELi512ELi4ELi16ELi64EjEEvPKfPKbPfiPT4_Piiii,comdat
.Lfunc_end42:
	.size	_ZN4vllm3moe17topkGatingSoftmaxILi8ELi512ELi4ELi16ELi64EjEEvPKfPKbPfiPT4_Piiii, .Lfunc_end42-_ZN4vllm3moe17topkGatingSoftmaxILi8ELi512ELi4ELi16ELi64EjEEvPKfPKbPfiPT4_Piiii
                                        ; -- End function
	.section	.AMDGPU.csdata,"",@progbits
; Kernel info:
; codeLenInByte = 3012
; NumSgprs: 18
; NumVgprs: 43
; ScratchSize: 0
; MemoryBound: 0
; FloatMode: 240
; IeeeMode: 1
; LDSByteSize: 8192 bytes/workgroup (compile time only)
; SGPRBlocks: 2
; VGPRBlocks: 5
; NumSGPRsForWavesPerEU: 18
; NumVGPRsForWavesPerEU: 43
; Occupancy: 16
; WaveLimiterHint : 0
; COMPUTE_PGM_RSRC2:SCRATCH_EN: 0
; COMPUTE_PGM_RSRC2:USER_SGPR: 15
; COMPUTE_PGM_RSRC2:TRAP_HANDLER: 0
; COMPUTE_PGM_RSRC2:TGID_X_EN: 1
; COMPUTE_PGM_RSRC2:TGID_Y_EN: 0
; COMPUTE_PGM_RSRC2:TGID_Z_EN: 0
; COMPUTE_PGM_RSRC2:TIDIG_COMP_CNT: 2
	.section	.text._ZN4vllm3moe17topkGatingSoftmaxILi16ELi512ELi4ELi16ELi32EjEEvPKfPKbPfiPT4_Piiii,"axG",@progbits,_ZN4vllm3moe17topkGatingSoftmaxILi16ELi512ELi4ELi16ELi32EjEEvPKfPKbPfiPT4_Piiii,comdat
	.protected	_ZN4vllm3moe17topkGatingSoftmaxILi16ELi512ELi4ELi16ELi32EjEEvPKfPKbPfiPT4_Piiii ; -- Begin function _ZN4vllm3moe17topkGatingSoftmaxILi16ELi512ELi4ELi16ELi32EjEEvPKfPKbPfiPT4_Piiii
	.globl	_ZN4vllm3moe17topkGatingSoftmaxILi16ELi512ELi4ELi16ELi32EjEEvPKfPKbPfiPT4_Piiii
	.p2align	8
	.type	_ZN4vllm3moe17topkGatingSoftmaxILi16ELi512ELi4ELi16ELi32EjEEvPKfPKbPfiPT4_Piiii,@function
_ZN4vllm3moe17topkGatingSoftmaxILi16ELi512ELi4ELi16ELi32EjEEvPKfPKbPfiPT4_Piiii: ; @_ZN4vllm3moe17topkGatingSoftmaxILi16ELi512ELi4ELi16ELi32EjEEvPKfPKbPfiPT4_Piiii
; %bb.0:
	s_load_b32 s14, s[2:3], 0x18
	v_and_b32_e32 v8, 0x3ff, v0
	v_bfe_u32 v9, v0, 10, 10
	s_lshl_b32 s4, s15, 2
	s_delay_alu instid0(VALU_DEP_2) | instskip(NEXT) | instid1(VALU_DEP_1)
	v_lshrrev_b32_e32 v1, 5, v8
	v_add3_u32 v1, s4, v9, v1
	s_mov_b32 s4, exec_lo
	s_waitcnt lgkmcnt(0)
	s_delay_alu instid0(VALU_DEP_1)
	v_cmpx_gt_i32_e64 s14, v1
	s_cbranch_execz .LBB43_30
; %bb.1:
	s_clause 0x1
	s_load_b128 s[4:7], s[2:3], 0x0
	s_load_b64 s[12:13], s[2:3], 0x10
	s_mov_b32 s15, -1
	s_waitcnt lgkmcnt(0)
	s_cmp_eq_u64 s[6:7], 0
	s_cbranch_scc1 .LBB43_3
; %bb.2:
	v_ashrrev_i32_e32 v3, 31, v1
	v_add_co_u32 v2, vcc_lo, s6, v1
	s_delay_alu instid0(VALU_DEP_2) | instskip(SKIP_3) | instid1(VALU_DEP_1)
	v_add_co_ci_u32_e32 v3, vcc_lo, s7, v3, vcc_lo
	global_load_u8 v2, v[2:3], off
	s_waitcnt vmcnt(0)
	v_and_b32_e32 v2, 1, v2
	v_cmp_eq_u32_e32 vcc_lo, 1, v2
	s_xor_b32 s6, vcc_lo, -1
	s_delay_alu instid0(SALU_CYCLE_1)
	s_or_not1_b32 s15, s6, exec_lo
.LBB43_3:
	v_lshlrev_b32_e32 v3, 9, v1
	v_and_b32_e32 v2, 31, v8
	v_mbcnt_lo_u32_b32 v7, -1, 0
	s_load_b64 s[0:1], s[0:1], 0x4
	v_bfe_u32 v0, v0, 20, 10
	v_ashrrev_i32_e32 v4, 31, v3
	v_lshlrev_b32_e32 v5, 4, v2
	v_xor_b32_e32 v6, 8, v7
	s_delay_alu instid0(VALU_DEP_3) | instskip(NEXT) | instid1(VALU_DEP_1)
	v_lshlrev_b64 v[3:4], 2, v[3:4]
	v_add_co_u32 v3, vcc_lo, s4, v3
	s_delay_alu instid0(VALU_DEP_2) | instskip(SKIP_1) | instid1(VALU_DEP_2)
	v_add_co_ci_u32_e32 v4, vcc_lo, s5, v4, vcc_lo
	s_load_b128 s[4:7], s[2:3], 0x30
	v_add_co_u32 v3, vcc_lo, v3, v5
	s_delay_alu instid0(VALU_DEP_2)
	v_add_co_ci_u32_e32 v4, vcc_lo, 0, v4, vcc_lo
	s_waitcnt lgkmcnt(0)
	v_mul_u32_u24_e32 v9, s1, v9
	s_lshr_b32 s0, s0, 16
	s_mov_b32 s7, 0
	s_clause 0x3
	global_load_b128 v[10:13], v[3:4], off
	global_load_b128 v[14:17], v[3:4], off offset:512
	global_load_b128 v[18:21], v[3:4], off offset:1024
	;; [unrolled: 1-line block ×3, first 2 shown]
	s_mul_i32 s0, s0, s1
	s_delay_alu instid0(SALU_CYCLE_1) | instskip(NEXT) | instid1(VALU_DEP_1)
	v_mad_u32_u24 v8, s0, v8, v9
	v_add_lshl_u32 v0, v8, v0, 6
	s_cmp_lt_i32 s4, 1
	s_waitcnt vmcnt(3)
	v_dual_max_f32 v3, v11, v11 :: v_dual_max_f32 v4, v10, v10
	s_delay_alu instid0(VALU_DEP_1) | instskip(SKIP_1) | instid1(VALU_DEP_1)
	v_max_f32_e32 v3, v4, v3
	v_xor_b32_e32 v4, 16, v7
	v_cmp_gt_i32_e32 vcc_lo, 32, v4
	v_cndmask_b32_e32 v4, v7, v4, vcc_lo
	v_cmp_gt_i32_e32 vcc_lo, 32, v6
	v_cndmask_b32_e32 v6, v7, v6, vcc_lo
	v_max3_f32 v3, v3, v12, v13
	s_waitcnt vmcnt(2)
	s_delay_alu instid0(VALU_DEP_1) | instskip(NEXT) | instid1(VALU_DEP_1)
	v_max3_f32 v3, v3, v14, v15
	v_max3_f32 v3, v3, v16, v17
	s_waitcnt vmcnt(1)
	s_delay_alu instid0(VALU_DEP_1) | instskip(NEXT) | instid1(VALU_DEP_1)
	v_max3_f32 v3, v3, v18, v19
	v_max3_f32 v3, v3, v20, v21
	s_waitcnt vmcnt(0)
	s_delay_alu instid0(VALU_DEP_1) | instskip(NEXT) | instid1(VALU_DEP_1)
	v_max3_f32 v5, v3, v22, v23
	v_max3_f32 v5, v5, v24, v25
	v_lshlrev_b32_e32 v3, 2, v4
	ds_bpermute_b32 v4, v3, v5
	s_waitcnt lgkmcnt(0)
	v_max_f32_e32 v26, v4, v4
	v_lshlrev_b32_e32 v4, 2, v6
	s_delay_alu instid0(VALU_DEP_2)
	v_max_f32_e32 v6, v5, v26
	v_xor_b32_e32 v26, 4, v7
	ds_bpermute_b32 v5, v4, v6
	v_cmp_gt_i32_e32 vcc_lo, 32, v26
	s_waitcnt lgkmcnt(0)
	v_dual_cndmask_b32 v26, v7, v26 :: v_dual_max_f32 v27, v5, v5
	s_delay_alu instid0(VALU_DEP_1)
	v_dual_max_f32 v26, v6, v27 :: v_dual_lshlrev_b32 v5, 2, v26
	v_xor_b32_e32 v27, 2, v7
	ds_bpermute_b32 v6, v5, v26
	v_cmp_gt_i32_e32 vcc_lo, 32, v27
	s_waitcnt lgkmcnt(0)
	v_dual_cndmask_b32 v27, v7, v27 :: v_dual_max_f32 v28, v6, v6
	s_delay_alu instid0(VALU_DEP_1) | instskip(SKIP_1) | instid1(VALU_DEP_1)
	v_max_f32_e32 v26, v26, v28
	v_xor_b32_e32 v28, 1, v7
	v_cmp_gt_i32_e32 vcc_lo, 32, v28
	s_delay_alu instid0(VALU_DEP_4) | instskip(SKIP_4) | instid1(VALU_DEP_1)
	v_dual_cndmask_b32 v7, v7, v28 :: v_dual_lshlrev_b32 v6, 2, v27
	ds_bpermute_b32 v27, v6, v26
	v_lshlrev_b32_e32 v7, 2, v7
	s_waitcnt lgkmcnt(0)
	v_max_f32_e32 v27, v27, v27
	v_max_f32_e32 v26, v26, v27
	ds_bpermute_b32 v27, v7, v26
	s_waitcnt lgkmcnt(0)
	v_max_f32_e32 v27, v27, v27
	s_delay_alu instid0(VALU_DEP_1) | instskip(NEXT) | instid1(VALU_DEP_1)
	v_max_f32_e32 v26, v26, v27
	v_sub_f32_e32 v17, v17, v26
	s_delay_alu instid0(VALU_DEP_1)
	v_mul_f32_e32 v33, 0x3fb8aa3b, v17
	v_sub_f32_e32 v25, v25, v26
	v_sub_f32_e32 v20, v20, v26
	;; [unrolled: 1-line block ×4, first 2 shown]
	v_rndne_f32_e32 v57, v33
	v_mul_f32_e32 v41, 0x3fb8aa3b, v25
	v_dual_sub_f32 v15, v15, v26 :: v_dual_mul_f32 v36, 0x3fb8aa3b, v20
	v_sub_f32_e32 v12, v12, v26
	s_delay_alu instid0(VALU_DEP_3) | instskip(NEXT) | instid1(VALU_DEP_3)
	v_rndne_f32_e32 v73, v41
	v_mul_f32_e32 v31, 0x3fb8aa3b, v15
	s_delay_alu instid0(VALU_DEP_3) | instskip(SKIP_2) | instid1(VALU_DEP_4)
	v_dual_sub_f32 v11, v11, v26 :: v_dual_mul_f32 v28, 0x3fb8aa3b, v12
	v_sub_f32_e32 v10, v10, v26
	v_fma_f32 v62, 0x3fb8aa3b, v20, -v36
	v_rndne_f32_e32 v53, v31
	s_delay_alu instid0(VALU_DEP_4)
	v_mul_f32_e32 v27, 0x3fb8aa3b, v11
	v_fma_f32 v46, 0x3fb8aa3b, v12, -v28
	v_sub_f32_e32 v23, v23, v26
	v_fma_f32 v52, 0x3fb8aa3b, v15, -v31
	v_rndne_f32_e32 v47, v28
	v_fma_f32 v44, 0x3fb8aa3b, v11, -v27
	v_dual_fmac_f32 v46, 0x32a5705f, v12 :: v_dual_sub_f32 v21, v21, v26
	v_dual_sub_f32 v18, v18, v26 :: v_dual_mul_f32 v39, 0x3fb8aa3b, v23
	s_delay_alu instid0(VALU_DEP_3) | instskip(NEXT) | instid1(VALU_DEP_3)
	v_fmac_f32_e32 v44, 0x32a5705f, v11
	v_dual_sub_f32 v16, v16, v26 :: v_dual_mul_f32 v37, 0x3fb8aa3b, v21
	v_sub_f32_e32 v13, v13, v26
	v_rndne_f32_e32 v45, v27
	v_sub_f32_e32 v22, v22, v26
	s_delay_alu instid0(VALU_DEP_4) | instskip(NEXT) | instid1(VALU_DEP_4)
	v_dual_mul_f32 v32, 0x3fb8aa3b, v16 :: v_dual_sub_f32 v31, v31, v53
	v_mul_f32_e32 v29, 0x3fb8aa3b, v13
	s_delay_alu instid0(VALU_DEP_4)
	v_sub_f32_e32 v27, v27, v45
	v_rndne_f32_e32 v69, v39
	v_fma_f32 v68, 0x3fb8aa3b, v23, -v39
	v_sub_f32_e32 v28, v28, v47
	v_rndne_f32_e32 v49, v29
	v_sub_f32_e32 v24, v24, v26
	v_mul_f32_e32 v26, 0x3fb8aa3b, v10
	v_fma_f32 v48, 0x3fb8aa3b, v13, -v29
	v_sub_f32_e32 v39, v39, v69
	v_dual_add_f32 v27, v27, v44 :: v_dual_add_f32 v28, v28, v46
	s_delay_alu instid0(VALU_DEP_4) | instskip(SKIP_2) | instid1(VALU_DEP_4)
	v_fma_f32 v42, 0x3fb8aa3b, v10, -v26
	v_rndne_f32_e32 v43, v26
	v_fmac_f32_e32 v48, 0x32a5705f, v13
	v_exp_f32_e32 v27, v27
	v_cvt_i32_f32_e32 v45, v45
	v_fmac_f32_e32 v42, 0x32a5705f, v10
	v_sub_f32_e32 v26, v26, v43
	v_cvt_i32_f32_e32 v43, v43
	v_dual_mul_f32 v35, 0x3fb8aa3b, v19 :: v_dual_mul_f32 v30, 0x3fb8aa3b, v14
	v_exp_f32_e32 v28, v28
	s_delay_alu instid0(VALU_DEP_3)
	v_add_f32_e32 v26, v26, v42
	v_cmp_ngt_f32_e32 vcc_lo, 0xc2ce8ed0, v10
	v_fma_f32 v54, 0x3fb8aa3b, v16, -v32
	v_cvt_i32_f32_e32 v47, v47
	v_sub_f32_e32 v29, v29, v49
	v_exp_f32_e32 v26, v26
	v_mul_f32_e32 v40, 0x3fb8aa3b, v24
	v_fma_f32 v56, 0x3fb8aa3b, v17, -v33
	v_sub_f32_e32 v33, v33, v57
	v_rndne_f32_e32 v51, v30
	v_ldexp_f32 v27, v27, v45
	v_fma_f32 v50, 0x3fb8aa3b, v14, -v30
	v_add_f32_e32 v29, v29, v48
	v_ldexp_f32 v28, v28, v47
	v_sub_f32_e32 v30, v30, v51
	v_ldexp_f32 v26, v26, v43
	v_fma_f32 v60, 0x3fb8aa3b, v19, -v35
	v_rndne_f32_e32 v61, v35
	v_fma_f32 v72, 0x3fb8aa3b, v25, -v41
	v_dual_fmac_f32 v50, 0x32a5705f, v14 :: v_dual_sub_f32 v41, v41, v73
	v_cndmask_b32_e32 v26, 0, v26, vcc_lo
	v_cmp_ngt_f32_e32 vcc_lo, 0xc2ce8ed0, v11
	v_fmac_f32_e32 v54, 0x32a5705f, v16
	v_exp_f32_e32 v29, v29
	v_dual_mul_f32 v34, 0x3fb8aa3b, v18 :: v_dual_sub_f32 v35, v35, v61
	v_cndmask_b32_e32 v27, 0, v27, vcc_lo
	v_cmp_ngt_f32_e32 vcc_lo, 0xc2ce8ed0, v12
	v_cvt_i32_f32_e32 v49, v49
	v_fmac_f32_e32 v72, 0x32a5705f, v25
	v_fmac_f32_e32 v60, 0x32a5705f, v19
	v_add_f32_e32 v30, v30, v50
	v_cndmask_b32_e32 v28, 0, v28, vcc_lo
	v_cmp_nlt_f32_e32 vcc_lo, 0x42b17218, v10
	v_rndne_f32_e32 v55, v32
	v_dual_add_f32 v41, v41, v72 :: v_dual_fmac_f32 v56, 0x32a5705f, v17
	v_dual_add_f32 v35, v35, v60 :: v_dual_cndmask_b32 v10, 0x7f800000, v26
	v_cmp_nlt_f32_e32 vcc_lo, 0x42b17218, v11
	s_delay_alu instid0(VALU_DEP_3)
	v_dual_fmac_f32 v52, 0x32a5705f, v15 :: v_dual_add_f32 v33, v33, v56
	v_exp_f32_e32 v30, v30
	v_ldexp_f32 v29, v29, v49
	v_cndmask_b32_e32 v11, 0x7f800000, v27, vcc_lo
	v_cmp_ngt_f32_e32 vcc_lo, 0xc2ce8ed0, v13
	v_cvt_i32_f32_e32 v51, v51
	v_dual_sub_f32 v32, v32, v55 :: v_dual_add_f32 v31, v31, v52
	v_rndne_f32_e32 v63, v36
	v_cndmask_b32_e32 v26, 0, v29, vcc_lo
	v_cmp_nlt_f32_e32 vcc_lo, 0x42b17218, v12
	s_delay_alu instid0(TRANS32_DEP_1)
	v_ldexp_f32 v30, v30, v51
	v_exp_f32_e32 v31, v31
	v_cvt_i32_f32_e32 v53, v53
	v_add_f32_e32 v32, v32, v54
	v_cndmask_b32_e32 v12, 0x7f800000, v28, vcc_lo
	v_cmp_ngt_f32_e32 vcc_lo, 0xc2ce8ed0, v14
	v_fma_f32 v64, 0x3fb8aa3b, v21, -v37
	v_dual_fmac_f32 v62, 0x32a5705f, v20 :: v_dual_add_f32 v27, v10, v11
	v_exp_f32_e32 v32, v32
	v_cndmask_b32_e32 v28, 0, v30, vcc_lo
	v_cmp_nlt_f32_e32 vcc_lo, 0x42b17218, v13
	v_sub_f32_e32 v36, v36, v63
	v_exp_f32_e32 v41, v41
	v_ldexp_f32 v31, v31, v53
	v_fma_f32 v58, 0x3fb8aa3b, v18, -v34
	v_cndmask_b32_e32 v13, 0x7f800000, v26, vcc_lo
	v_cmp_ngt_f32_e32 vcc_lo, 0xc2ce8ed0, v15
	v_rndne_f32_e32 v59, v34
	v_rndne_f32_e32 v65, v37
	v_cvt_i32_f32_e32 v55, v55
	v_fmac_f32_e32 v64, 0x32a5705f, v21
	v_cvt_i32_f32_e32 v73, v73
	v_dual_add_f32 v26, v27, v12 :: v_dual_cndmask_b32 v27, 0, v31
	v_cmp_nlt_f32_e32 vcc_lo, 0x42b17218, v14
	v_dual_mul_f32 v38, 0x3fb8aa3b, v22 :: v_dual_sub_f32 v37, v37, v65
	v_fmac_f32_e32 v58, 0x32a5705f, v18
	v_exp_f32_e32 v33, v33
	v_ldexp_f32 v32, v32, v55
	v_ldexp_f32 v41, v41, v73
	v_dual_add_f32 v37, v37, v64 :: v_dual_fmac_f32 v68, 0x32a5705f, v23
	v_sub_f32_e32 v34, v34, v59
	v_cndmask_b32_e32 v14, 0x7f800000, v28, vcc_lo
	v_cmp_ngt_f32_e32 vcc_lo, 0xc2ce8ed0, v16
	v_cvt_i32_f32_e32 v57, v57
	s_delay_alu instid0(VALU_DEP_4)
	v_dual_add_f32 v39, v39, v68 :: v_dual_add_f32 v34, v34, v58
	v_fma_f32 v66, 0x3fb8aa3b, v22, -v38
	v_cndmask_b32_e32 v28, 0, v32, vcc_lo
	v_cmp_nlt_f32_e32 vcc_lo, 0x42b17218, v15
	v_ldexp_f32 v33, v33, v57
	v_exp_f32_e32 v34, v34
	v_cvt_i32_f32_e32 v59, v59
	v_exp_f32_e32 v35, v35
	v_cndmask_b32_e32 v15, 0x7f800000, v27, vcc_lo
	v_cmp_ngt_f32_e32 vcc_lo, 0xc2ce8ed0, v17
	v_fmac_f32_e32 v66, 0x32a5705f, v22
	v_cvt_i32_f32_e32 v61, v61
	v_add_f32_e32 v36, v36, v62
	v_fma_f32 v70, 0x3fb8aa3b, v24, -v40
	v_cndmask_b32_e32 v27, 0, v33, vcc_lo
	v_cmp_nlt_f32_e32 vcc_lo, 0x42b17218, v16
	v_ldexp_f32 v34, v34, v59
	v_exp_f32_e32 v36, v36
	v_ldexp_f32 v35, v35, v61
	v_cvt_i32_f32_e32 v63, v63
	v_cndmask_b32_e32 v16, 0x7f800000, v28, vcc_lo
	v_cmp_ngt_f32_e32 vcc_lo, 0xc2ce8ed0, v18
	v_exp_f32_e32 v37, v37
	v_rndne_f32_e32 v67, v38
	v_cvt_i32_f32_e32 v65, v65
	v_add_f32_e32 v26, v26, v13
	v_cndmask_b32_e32 v28, 0, v34, vcc_lo
	v_cmp_nlt_f32_e32 vcc_lo, 0x42b17218, v17
	v_ldexp_f32 v36, v36, v63
	v_rndne_f32_e32 v71, v40
	v_add_f32_e32 v26, v26, v14
	v_exp_f32_e32 v39, v39
	v_cndmask_b32_e32 v17, 0x7f800000, v27, vcc_lo
	v_cmp_ngt_f32_e32 vcc_lo, 0xc2ce8ed0, v19
	v_fmac_f32_e32 v70, 0x32a5705f, v24
	v_ldexp_f32 v37, v37, v65
	v_sub_f32_e32 v40, v40, v71
	v_add_f32_e32 v26, v26, v15
	v_cndmask_b32_e32 v27, 0, v35, vcc_lo
	v_cmp_nlt_f32_e32 vcc_lo, 0x42b17218, v18
	v_cvt_i32_f32_e32 v69, v69
	v_add_f32_e32 v40, v40, v70
	v_add_f32_e32 v26, v26, v16
	v_cvt_i32_f32_e32 v71, v71
	v_cndmask_b32_e32 v18, 0x7f800000, v28, vcc_lo
	v_cmp_ngt_f32_e32 vcc_lo, 0xc2ce8ed0, v20
	v_exp_f32_e32 v40, v40
	v_ldexp_f32 v39, v39, v69
	v_add_f32_e32 v26, v26, v17
	v_cndmask_b32_e32 v28, 0, v36, vcc_lo
	v_cmp_nlt_f32_e32 vcc_lo, 0x42b17218, v19
	s_delay_alu instid0(VALU_DEP_3) | instskip(SKIP_3) | instid1(TRANS32_DEP_1)
	v_dual_add_f32 v26, v26, v18 :: v_dual_cndmask_b32 v19, 0x7f800000, v27
	v_cmp_ngt_f32_e32 vcc_lo, 0xc2ce8ed0, v21
	v_sub_f32_e32 v38, v38, v67
	v_cvt_i32_f32_e32 v67, v67
	v_ldexp_f32 v40, v40, v71
	v_dual_add_f32 v26, v26, v19 :: v_dual_cndmask_b32 v27, 0, v37
	s_delay_alu instid0(VALU_DEP_4) | instskip(SKIP_1) | instid1(VALU_DEP_2)
	v_add_f32_e32 v38, v38, v66
	v_cmp_nlt_f32_e32 vcc_lo, 0x42b17218, v20
	v_exp_f32_e32 v38, v38
	v_cndmask_b32_e32 v20, 0x7f800000, v28, vcc_lo
	v_cmp_ngt_f32_e32 vcc_lo, 0xc2ce8ed0, v22
	s_delay_alu instid0(VALU_DEP_2) | instskip(SKIP_2) | instid1(VALU_DEP_1)
	v_add_f32_e32 v26, v26, v20
	s_waitcnt_depctr 0xfff
	v_ldexp_f32 v38, v38, v67
	v_cndmask_b32_e32 v28, 0, v38, vcc_lo
	v_cmp_nlt_f32_e32 vcc_lo, 0x42b17218, v21
	v_cndmask_b32_e32 v21, 0x7f800000, v27, vcc_lo
	v_cmp_ngt_f32_e32 vcc_lo, 0xc2ce8ed0, v23
	s_delay_alu instid0(VALU_DEP_2) | instskip(SKIP_3) | instid1(VALU_DEP_2)
	v_dual_add_f32 v26, v26, v21 :: v_dual_cndmask_b32 v27, 0, v39
	v_cmp_nlt_f32_e32 vcc_lo, 0x42b17218, v22
	v_cndmask_b32_e32 v22, 0x7f800000, v28, vcc_lo
	v_cmp_ngt_f32_e32 vcc_lo, 0xc2ce8ed0, v24
	v_add_f32_e32 v26, v26, v22
	v_cndmask_b32_e32 v28, 0, v40, vcc_lo
	v_cmp_nlt_f32_e32 vcc_lo, 0x42b17218, v23
	v_cndmask_b32_e32 v23, 0x7f800000, v27, vcc_lo
	v_cmp_ngt_f32_e32 vcc_lo, 0xc2ce8ed0, v25
	s_delay_alu instid0(VALU_DEP_2) | instskip(SKIP_3) | instid1(VALU_DEP_2)
	v_dual_add_f32 v26, v26, v23 :: v_dual_cndmask_b32 v27, 0, v41
	v_cmp_nlt_f32_e32 vcc_lo, 0x42b17218, v24
	v_cndmask_b32_e32 v24, 0x7f800000, v28, vcc_lo
	v_cmp_nlt_f32_e32 vcc_lo, 0x42b17218, v25
	v_dual_add_f32 v26, v26, v24 :: v_dual_cndmask_b32 v25, 0x7f800000, v27
	s_delay_alu instid0(VALU_DEP_1)
	v_add_f32_e32 v26, v26, v25
	ds_bpermute_b32 v27, v3, v26
	s_waitcnt lgkmcnt(0)
	v_add_f32_e32 v26, v26, v27
	ds_bpermute_b32 v27, v4, v26
	s_waitcnt lgkmcnt(0)
	;; [unrolled: 3-line block ×5, first 2 shown]
	v_add_f32_e32 v26, v26, v27
	s_delay_alu instid0(VALU_DEP_1) | instskip(SKIP_1) | instid1(VALU_DEP_2)
	v_div_scale_f32 v27, null, v26, v26, 1.0
	v_div_scale_f32 v30, vcc_lo, 1.0, v26, 1.0
	v_rcp_f32_e32 v28, v27
	s_waitcnt_depctr 0xfff
	v_fma_f32 v29, -v27, v28, 1.0
	s_delay_alu instid0(VALU_DEP_1) | instskip(NEXT) | instid1(VALU_DEP_1)
	v_fmac_f32_e32 v28, v29, v28
	v_mul_f32_e32 v29, v30, v28
	s_delay_alu instid0(VALU_DEP_1) | instskip(NEXT) | instid1(VALU_DEP_1)
	v_fma_f32 v31, -v27, v29, v30
	v_fmac_f32_e32 v29, v31, v28
	s_delay_alu instid0(VALU_DEP_1) | instskip(NEXT) | instid1(VALU_DEP_1)
	v_fma_f32 v27, -v27, v29, v30
	v_div_fmas_f32 v27, v27, v28, v29
	s_delay_alu instid0(VALU_DEP_1) | instskip(NEXT) | instid1(VALU_DEP_1)
	v_div_fixup_f32 v26, v27, v26, 1.0
	v_mul_f32_e32 v9, v26, v11
	v_mul_f32_e32 v11, v26, v13
	;; [unrolled: 1-line block ×16, first 2 shown]
	ds_store_b128 v0, v[8:11]
	ds_store_b128 v0, v[12:15] offset:16
	ds_store_b128 v0, v[16:19] offset:32
	;; [unrolled: 1-line block ×3, first 2 shown]
	s_cbranch_scc1 .LBB43_30
; %bb.4:
	s_load_b128 s[8:11], s[2:3], 0x20
	v_mul_lo_u32 v8, v1, s4
	v_dual_mov_b32 v10, 0xc61c4000 :: v_dual_lshlrev_b32 v9, 2, v2
	v_cmp_eq_u32_e32 vcc_lo, 0, v2
	s_branch .LBB43_6
.LBB43_5:                               ;   in Loop: Header=BB43_6 Depth=1
	s_or_b32 exec_lo, exec_lo, s0
	v_add_nc_u32_e32 v1, s14, v1
	s_cmp_lg_u32 s4, s7
	s_cbranch_scc0 .LBB43_30
.LBB43_6:                               ; =>This Inner Loop Header: Depth=1
	ds_load_b128 v[11:14], v0
	ds_load_b128 v[15:18], v0 offset:16
	s_mov_b32 s3, exec_lo
	s_waitcnt lgkmcnt(0)
	v_cmp_gt_f32_e64 s0, v12, v11
	s_delay_alu instid0(VALU_DEP_1) | instskip(SKIP_1) | instid1(VALU_DEP_2)
	v_cndmask_b32_e64 v11, v11, v12, s0
	v_cndmask_b32_e64 v12, 0, 1, s0
	v_cmp_gt_f32_e64 s0, v13, v11
	s_delay_alu instid0(VALU_DEP_1) | instskip(NEXT) | instid1(VALU_DEP_3)
	v_cndmask_b32_e64 v11, v11, v13, s0
	v_cndmask_b32_e64 v12, v12, 2, s0
	s_delay_alu instid0(VALU_DEP_2) | instskip(NEXT) | instid1(VALU_DEP_1)
	v_cmp_gt_f32_e64 s0, v14, v11
	v_cndmask_b32_e64 v11, v11, v14, s0
	s_delay_alu instid0(VALU_DEP_3) | instskip(NEXT) | instid1(VALU_DEP_2)
	v_cndmask_b32_e64 v19, v12, 3, s0
	v_cmp_gt_f32_e64 s0, v15, v11
	s_delay_alu instid0(VALU_DEP_1) | instskip(NEXT) | instid1(VALU_DEP_3)
	v_cndmask_b32_e64 v15, v11, v15, s0
	v_cndmask_b32_e64 v19, v19, 0x80, s0
	ds_load_b128 v[11:14], v0 offset:32
	v_cmp_gt_f32_e64 s0, v16, v15
	s_delay_alu instid0(VALU_DEP_1) | instskip(SKIP_1) | instid1(VALU_DEP_2)
	v_cndmask_b32_e64 v15, v15, v16, s0
	v_cndmask_b32_e64 v16, v19, 0x81, s0
	v_cmp_gt_f32_e64 s0, v17, v15
	s_delay_alu instid0(VALU_DEP_1) | instskip(NEXT) | instid1(VALU_DEP_3)
	v_cndmask_b32_e64 v15, v15, v17, s0
	v_cndmask_b32_e64 v19, v16, 0x82, s0
	s_delay_alu instid0(VALU_DEP_2) | instskip(NEXT) | instid1(VALU_DEP_1)
	v_cmp_gt_f32_e64 s0, v18, v15
	v_cndmask_b32_e64 v20, v15, v18, s0
	ds_load_b128 v[15:18], v0 offset:48
	v_cndmask_b32_e64 v19, v19, 0x83, s0
	s_waitcnt lgkmcnt(1)
	v_cmp_gt_f32_e64 s0, v11, v20
	s_delay_alu instid0(VALU_DEP_1) | instskip(NEXT) | instid1(VALU_DEP_3)
	v_cndmask_b32_e64 v11, v20, v11, s0
	v_cndmask_b32_e64 v19, v19, 0x100, s0
	s_delay_alu instid0(VALU_DEP_2) | instskip(NEXT) | instid1(VALU_DEP_1)
	v_cmp_gt_f32_e64 s0, v12, v11
	v_cndmask_b32_e64 v11, v11, v12, s0
	s_delay_alu instid0(VALU_DEP_3) | instskip(NEXT) | instid1(VALU_DEP_2)
	v_cndmask_b32_e64 v12, v19, 0x101, s0
	v_cmp_gt_f32_e64 s0, v13, v11
	s_delay_alu instid0(VALU_DEP_1) | instskip(NEXT) | instid1(VALU_DEP_3)
	v_cndmask_b32_e64 v11, v11, v13, s0
	v_cndmask_b32_e64 v12, v12, 0x102, s0
	s_delay_alu instid0(VALU_DEP_2) | instskip(NEXT) | instid1(VALU_DEP_1)
	v_cmp_gt_f32_e64 s0, v14, v11
	v_cndmask_b32_e64 v11, v11, v14, s0
	s_delay_alu instid0(VALU_DEP_3) | instskip(SKIP_1) | instid1(VALU_DEP_2)
	v_cndmask_b32_e64 v12, v12, 0x103, s0
	s_waitcnt lgkmcnt(0)
	v_cmp_gt_f32_e64 s0, v15, v11
	s_delay_alu instid0(VALU_DEP_1) | instskip(NEXT) | instid1(VALU_DEP_3)
	v_cndmask_b32_e64 v11, v11, v15, s0
	v_cndmask_b32_e64 v12, v12, 0x180, s0
	s_delay_alu instid0(VALU_DEP_2) | instskip(NEXT) | instid1(VALU_DEP_1)
	v_cmp_gt_f32_e64 s0, v16, v11
	v_cndmask_b32_e64 v11, v11, v16, s0
	s_delay_alu instid0(VALU_DEP_3) | instskip(NEXT) | instid1(VALU_DEP_2)
	v_cndmask_b32_e64 v12, v12, 0x181, s0
	v_cmp_gt_f32_e64 s0, v17, v11
	s_delay_alu instid0(VALU_DEP_1) | instskip(NEXT) | instid1(VALU_DEP_3)
	v_cndmask_b32_e64 v11, v11, v17, s0
	v_cndmask_b32_e64 v13, v12, 0x182, s0
	s_delay_alu instid0(VALU_DEP_2) | instskip(NEXT) | instid1(VALU_DEP_1)
	v_cmp_gt_f32_e64 s0, v18, v11
	v_cndmask_b32_e64 v12, v11, v18, s0
	s_delay_alu instid0(VALU_DEP_3)
	v_cndmask_b32_e64 v11, v13, 0x183, s0
	ds_bpermute_b32 v13, v3, v12
	v_or_b32_e32 v11, v9, v11
	ds_bpermute_b32 v14, v3, v11
	s_waitcnt lgkmcnt(1)
	v_cmp_lt_f32_e64 s2, v12, v13
	v_cmpx_nlt_f32_e32 v12, v13
	s_cbranch_execz .LBB43_8
; %bb.7:                                ;   in Loop: Header=BB43_6 Depth=1
	v_cmp_eq_f32_e64 s0, v12, v13
	s_waitcnt lgkmcnt(0)
	v_cmp_lt_i32_e64 s1, v14, v11
	s_delay_alu instid0(VALU_DEP_1) | instskip(SKIP_2) | instid1(SALU_CYCLE_1)
	s_and_b32 s0, s0, s1
	s_and_not1_b32 s1, s2, exec_lo
	s_and_b32 s0, s0, exec_lo
	s_or_b32 s2, s1, s0
.LBB43_8:                               ;   in Loop: Header=BB43_6 Depth=1
	s_or_b32 exec_lo, exec_lo, s3
	s_delay_alu instid0(VALU_DEP_2)
	s_and_saveexec_b32 s0, s2
	s_cbranch_execz .LBB43_10
; %bb.9:                                ;   in Loop: Header=BB43_6 Depth=1
	s_waitcnt lgkmcnt(0)
	v_dual_mov_b32 v12, v13 :: v_dual_mov_b32 v11, v14
.LBB43_10:                              ;   in Loop: Header=BB43_6 Depth=1
	s_or_b32 exec_lo, exec_lo, s0
	s_waitcnt lgkmcnt(0)
	ds_bpermute_b32 v14, v4, v12
	ds_bpermute_b32 v13, v4, v11
	s_mov_b32 s3, exec_lo
	s_waitcnt lgkmcnt(1)
	v_cmp_lt_f32_e64 s2, v12, v14
	v_cmpx_nlt_f32_e32 v12, v14
	s_cbranch_execz .LBB43_12
; %bb.11:                               ;   in Loop: Header=BB43_6 Depth=1
	v_cmp_eq_f32_e64 s0, v12, v14
	s_waitcnt lgkmcnt(0)
	v_cmp_lt_i32_e64 s1, v13, v11
	s_delay_alu instid0(VALU_DEP_1) | instskip(SKIP_2) | instid1(SALU_CYCLE_1)
	s_and_b32 s0, s0, s1
	s_and_not1_b32 s1, s2, exec_lo
	s_and_b32 s0, s0, exec_lo
	s_or_b32 s2, s1, s0
.LBB43_12:                              ;   in Loop: Header=BB43_6 Depth=1
	s_or_b32 exec_lo, exec_lo, s3
	s_delay_alu instid0(VALU_DEP_2)
	s_and_saveexec_b32 s0, s2
	s_cbranch_execz .LBB43_14
; %bb.13:                               ;   in Loop: Header=BB43_6 Depth=1
	s_waitcnt lgkmcnt(0)
	v_dual_mov_b32 v12, v14 :: v_dual_mov_b32 v11, v13
.LBB43_14:                              ;   in Loop: Header=BB43_6 Depth=1
	s_or_b32 exec_lo, exec_lo, s0
	ds_bpermute_b32 v14, v5, v12
	s_waitcnt lgkmcnt(1)
	ds_bpermute_b32 v13, v5, v11
	s_mov_b32 s3, exec_lo
	s_waitcnt lgkmcnt(1)
	v_cmp_lt_f32_e64 s2, v12, v14
	v_cmpx_nlt_f32_e32 v12, v14
	s_cbranch_execz .LBB43_16
; %bb.15:                               ;   in Loop: Header=BB43_6 Depth=1
	v_cmp_eq_f32_e64 s0, v12, v14
	s_waitcnt lgkmcnt(0)
	v_cmp_lt_i32_e64 s1, v13, v11
	s_delay_alu instid0(VALU_DEP_1) | instskip(SKIP_2) | instid1(SALU_CYCLE_1)
	s_and_b32 s0, s0, s1
	s_and_not1_b32 s1, s2, exec_lo
	s_and_b32 s0, s0, exec_lo
	s_or_b32 s2, s1, s0
.LBB43_16:                              ;   in Loop: Header=BB43_6 Depth=1
	s_or_b32 exec_lo, exec_lo, s3
	s_delay_alu instid0(VALU_DEP_2)
	s_and_saveexec_b32 s0, s2
	s_cbranch_execz .LBB43_18
; %bb.17:                               ;   in Loop: Header=BB43_6 Depth=1
	s_waitcnt lgkmcnt(0)
	v_dual_mov_b32 v12, v14 :: v_dual_mov_b32 v11, v13
.LBB43_18:                              ;   in Loop: Header=BB43_6 Depth=1
	s_or_b32 exec_lo, exec_lo, s0
	ds_bpermute_b32 v14, v6, v12
	s_waitcnt lgkmcnt(1)
	ds_bpermute_b32 v13, v6, v11
	s_mov_b32 s3, exec_lo
	s_waitcnt lgkmcnt(1)
	v_cmp_lt_f32_e64 s2, v12, v14
	v_cmpx_nlt_f32_e32 v12, v14
	s_cbranch_execz .LBB43_20
; %bb.19:                               ;   in Loop: Header=BB43_6 Depth=1
	v_cmp_eq_f32_e64 s0, v12, v14
	s_waitcnt lgkmcnt(0)
	v_cmp_lt_i32_e64 s1, v13, v11
	s_delay_alu instid0(VALU_DEP_1) | instskip(SKIP_2) | instid1(SALU_CYCLE_1)
	s_and_b32 s0, s0, s1
	s_and_not1_b32 s1, s2, exec_lo
	s_and_b32 s0, s0, exec_lo
	s_or_b32 s2, s1, s0
.LBB43_20:                              ;   in Loop: Header=BB43_6 Depth=1
	s_or_b32 exec_lo, exec_lo, s3
	s_delay_alu instid0(VALU_DEP_2)
	s_and_saveexec_b32 s0, s2
	s_cbranch_execz .LBB43_22
; %bb.21:                               ;   in Loop: Header=BB43_6 Depth=1
	s_waitcnt lgkmcnt(0)
	v_dual_mov_b32 v12, v14 :: v_dual_mov_b32 v11, v13
.LBB43_22:                              ;   in Loop: Header=BB43_6 Depth=1
	s_or_b32 exec_lo, exec_lo, s0
	s_waitcnt lgkmcnt(0)
	ds_bpermute_b32 v13, v7, v12
	ds_bpermute_b32 v14, v7, v11
	s_mov_b32 s3, exec_lo
	s_waitcnt lgkmcnt(1)
	v_cmp_lt_f32_e64 s2, v12, v13
	v_cmpx_nlt_f32_e32 v12, v13
	s_cbranch_execnz .LBB43_28
; %bb.23:                               ;   in Loop: Header=BB43_6 Depth=1
	s_or_b32 exec_lo, exec_lo, s3
	s_delay_alu instid0(VALU_DEP_2)
	s_and_saveexec_b32 s0, s2
	s_cbranch_execnz .LBB43_29
.LBB43_24:                              ;   in Loop: Header=BB43_6 Depth=1
	s_or_b32 exec_lo, exec_lo, s0
	s_and_saveexec_b32 s2, vcc_lo
	s_cbranch_execz .LBB43_26
.LBB43_25:                              ;   in Loop: Header=BB43_6 Depth=1
	v_add_nc_u32_e32 v13, s7, v8
	v_cmp_le_i32_e64 s0, s5, v11
	v_cmp_gt_i32_e64 s1, s6, v11
	v_subrev_nc_u32_e32 v15, s5, v11
	s_waitcnt lgkmcnt(0)
	v_ashrrev_i32_e32 v14, 31, v13
	s_delay_alu instid0(VALU_DEP_3) | instskip(NEXT) | instid1(SALU_CYCLE_1)
	s_and_b32 s0, s0, s1
	s_and_b32 s0, s15, s0
	s_delay_alu instid0(VALU_DEP_1) | instskip(SKIP_1) | instid1(VALU_DEP_2)
	v_lshlrev_b64 v[13:14], 2, v[13:14]
	v_cndmask_b32_e64 v19, 0x200, v15, s0
	v_add_co_u32 v15, s0, s12, v13
	s_delay_alu instid0(VALU_DEP_1) | instskip(SKIP_1) | instid1(VALU_DEP_1)
	v_add_co_ci_u32_e64 v16, s0, s13, v14, s0
	v_add_co_u32 v17, s0, s8, v13
	v_add_co_ci_u32_e64 v18, s0, s9, v14, s0
	v_add_co_u32 v13, s0, s10, v13
	s_delay_alu instid0(VALU_DEP_1)
	v_add_co_ci_u32_e64 v14, s0, s11, v14, s0
	global_store_b32 v[15:16], v12, off
	global_store_b32 v[17:18], v19, off
	;; [unrolled: 1-line block ×3, first 2 shown]
.LBB43_26:                              ;   in Loop: Header=BB43_6 Depth=1
	s_or_b32 exec_lo, exec_lo, s2
	v_ashrrev_i32_e32 v12, 31, v11
	s_add_i32 s7, s7, 1
	s_delay_alu instid0(SALU_CYCLE_1) | instskip(SKIP_1) | instid1(VALU_DEP_1)
	s_cmp_lt_i32 s7, s4
	s_cselect_b32 s1, -1, 0
	v_lshrrev_b32_e32 v13, 30, v12
	s_delay_alu instid0(VALU_DEP_1) | instskip(SKIP_1) | instid1(VALU_DEP_1)
	v_add_nc_u32_e32 v13, v11, v13
	s_waitcnt lgkmcnt(0)
	v_ashrrev_i32_e32 v14, 31, v13
	v_ashrrev_i32_e32 v13, 2, v13
	s_delay_alu instid0(VALU_DEP_2) | instskip(NEXT) | instid1(VALU_DEP_1)
	v_lshrrev_b32_e32 v14, 27, v14
	v_add_nc_u32_e32 v14, v13, v14
	s_delay_alu instid0(VALU_DEP_1) | instskip(NEXT) | instid1(VALU_DEP_1)
	v_and_b32_e32 v14, 0xffffffe0, v14
	v_sub_nc_u32_e32 v14, v13, v14
	s_delay_alu instid0(VALU_DEP_1) | instskip(NEXT) | instid1(VALU_DEP_1)
	v_cmp_eq_u32_e64 s0, v2, v14
	s_and_b32 s1, s1, s0
	s_delay_alu instid0(SALU_CYCLE_1)
	s_and_saveexec_b32 s0, s1
	s_cbranch_execz .LBB43_5
; %bb.27:                               ;   in Loop: Header=BB43_6 Depth=1
	v_lshrrev_b32_e32 v12, 25, v12
	v_lshlrev_b32_e32 v13, 2, v13
	s_delay_alu instid0(VALU_DEP_2) | instskip(NEXT) | instid1(VALU_DEP_2)
	v_add_nc_u32_e32 v12, v11, v12
	v_sub_nc_u32_e32 v11, v11, v13
	s_delay_alu instid0(VALU_DEP_2) | instskip(NEXT) | instid1(VALU_DEP_1)
	v_ashrrev_i32_e32 v12, 7, v12
	v_lshl_add_u32 v11, v12, 2, v11
	s_delay_alu instid0(VALU_DEP_1)
	v_lshl_add_u32 v11, v11, 2, v0
	ds_store_b32 v11, v10
	s_branch .LBB43_5
.LBB43_28:                              ;   in Loop: Header=BB43_6 Depth=1
	v_cmp_eq_f32_e64 s0, v12, v13
	s_waitcnt lgkmcnt(0)
	v_cmp_lt_i32_e64 s1, v14, v11
	s_delay_alu instid0(VALU_DEP_1) | instskip(SKIP_2) | instid1(SALU_CYCLE_1)
	s_and_b32 s0, s0, s1
	s_and_not1_b32 s1, s2, exec_lo
	s_and_b32 s0, s0, exec_lo
	s_or_b32 s2, s1, s0
	s_or_b32 exec_lo, exec_lo, s3
	s_and_saveexec_b32 s0, s2
	s_cbranch_execz .LBB43_24
.LBB43_29:                              ;   in Loop: Header=BB43_6 Depth=1
	s_waitcnt lgkmcnt(0)
	v_dual_mov_b32 v12, v13 :: v_dual_mov_b32 v11, v14
	s_or_b32 exec_lo, exec_lo, s0
	s_and_saveexec_b32 s2, vcc_lo
	s_cbranch_execnz .LBB43_25
	s_branch .LBB43_26
.LBB43_30:
	s_nop 0
	s_sendmsg sendmsg(MSG_DEALLOC_VGPRS)
	s_endpgm
	.section	.rodata,"a",@progbits
	.p2align	6, 0x0
	.amdhsa_kernel _ZN4vllm3moe17topkGatingSoftmaxILi16ELi512ELi4ELi16ELi32EjEEvPKfPKbPfiPT4_Piiii
		.amdhsa_group_segment_fixed_size 8192
		.amdhsa_private_segment_fixed_size 0
		.amdhsa_kernarg_size 60
		.amdhsa_user_sgpr_count 15
		.amdhsa_user_sgpr_dispatch_ptr 1
		.amdhsa_user_sgpr_queue_ptr 0
		.amdhsa_user_sgpr_kernarg_segment_ptr 1
		.amdhsa_user_sgpr_dispatch_id 0
		.amdhsa_user_sgpr_private_segment_size 0
		.amdhsa_wavefront_size32 1
		.amdhsa_uses_dynamic_stack 0
		.amdhsa_enable_private_segment 0
		.amdhsa_system_sgpr_workgroup_id_x 1
		.amdhsa_system_sgpr_workgroup_id_y 0
		.amdhsa_system_sgpr_workgroup_id_z 0
		.amdhsa_system_sgpr_workgroup_info 0
		.amdhsa_system_vgpr_workitem_id 2
		.amdhsa_next_free_vgpr 74
		.amdhsa_next_free_sgpr 16
		.amdhsa_reserve_vcc 1
		.amdhsa_float_round_mode_32 0
		.amdhsa_float_round_mode_16_64 0
		.amdhsa_float_denorm_mode_32 3
		.amdhsa_float_denorm_mode_16_64 3
		.amdhsa_dx10_clamp 1
		.amdhsa_ieee_mode 1
		.amdhsa_fp16_overflow 0
		.amdhsa_workgroup_processor_mode 1
		.amdhsa_memory_ordered 1
		.amdhsa_forward_progress 0
		.amdhsa_shared_vgpr_count 0
		.amdhsa_exception_fp_ieee_invalid_op 0
		.amdhsa_exception_fp_denorm_src 0
		.amdhsa_exception_fp_ieee_div_zero 0
		.amdhsa_exception_fp_ieee_overflow 0
		.amdhsa_exception_fp_ieee_underflow 0
		.amdhsa_exception_fp_ieee_inexact 0
		.amdhsa_exception_int_div_zero 0
	.end_amdhsa_kernel
	.section	.text._ZN4vllm3moe17topkGatingSoftmaxILi16ELi512ELi4ELi16ELi32EjEEvPKfPKbPfiPT4_Piiii,"axG",@progbits,_ZN4vllm3moe17topkGatingSoftmaxILi16ELi512ELi4ELi16ELi32EjEEvPKfPKbPfiPT4_Piiii,comdat
.Lfunc_end43:
	.size	_ZN4vllm3moe17topkGatingSoftmaxILi16ELi512ELi4ELi16ELi32EjEEvPKfPKbPfiPT4_Piiii, .Lfunc_end43-_ZN4vllm3moe17topkGatingSoftmaxILi16ELi512ELi4ELi16ELi32EjEEvPKfPKbPfiPT4_Piiii
                                        ; -- End function
	.section	.AMDGPU.csdata,"",@progbits
; Kernel info:
; codeLenInByte = 3968
; NumSgprs: 18
; NumVgprs: 74
; ScratchSize: 0
; MemoryBound: 0
; FloatMode: 240
; IeeeMode: 1
; LDSByteSize: 8192 bytes/workgroup (compile time only)
; SGPRBlocks: 2
; VGPRBlocks: 9
; NumSGPRsForWavesPerEU: 18
; NumVGPRsForWavesPerEU: 74
; Occupancy: 16
; WaveLimiterHint : 0
; COMPUTE_PGM_RSRC2:SCRATCH_EN: 0
; COMPUTE_PGM_RSRC2:USER_SGPR: 15
; COMPUTE_PGM_RSRC2:TRAP_HANDLER: 0
; COMPUTE_PGM_RSRC2:TGID_X_EN: 1
; COMPUTE_PGM_RSRC2:TGID_Y_EN: 0
; COMPUTE_PGM_RSRC2:TGID_Z_EN: 0
; COMPUTE_PGM_RSRC2:TIDIG_COMP_CNT: 2
	.section	.text._ZN4vllm3moe7moeTopKILi256EjEEvPKfPKbPfPT0_Piiiii,"axG",@progbits,_ZN4vllm3moe7moeTopKILi256EjEEvPKfPKbPfPT0_Piiiii,comdat
	.protected	_ZN4vllm3moe7moeTopKILi256EjEEvPKfPKbPfPT0_Piiiii ; -- Begin function _ZN4vllm3moe7moeTopKILi256EjEEvPKfPKbPfPT0_Piiiii
	.globl	_ZN4vllm3moe7moeTopKILi256EjEEvPKfPKbPfPT0_Piiiii
	.p2align	8
	.type	_ZN4vllm3moe7moeTopKILi256EjEEvPKfPKbPfPT0_Piiiii,@function
_ZN4vllm3moe7moeTopKILi256EjEEvPKfPKbPfPT0_Piiiii: ; @_ZN4vllm3moe7moeTopKILi256EjEEvPKfPKbPfPT0_Piiiii
; %bb.0:
	s_load_b256 s[16:23], s[0:1], 0x0
	s_waitcnt lgkmcnt(0)
	s_cmp_eq_u64 s[18:19], 0
	s_cbranch_scc1 .LBB44_2
; %bb.1:
	v_mov_b32_e32 v1, 0
	s_ashr_i32 s3, s15, 31
	s_add_u32 s2, s18, s15
	s_addc_u32 s3, s19, s3
	global_load_u8 v1, v1, s[2:3]
	s_waitcnt vmcnt(0)
	v_readfirstlane_b32 s2, v1
	s_delay_alu instid0(VALU_DEP_1) | instskip(SKIP_1) | instid1(SALU_CYCLE_1)
	s_bitcmp1_b32 s2, 0
	s_cselect_b32 s2, -1, 0
	s_xor_b32 s14, s2, -1
	s_load_b128 s[8:11], s[0:1], 0x28
	s_waitcnt lgkmcnt(0)
	s_cmp_lt_i32 s9, 1
	s_cbranch_scc0 .LBB44_3
	s_branch .LBB44_20
.LBB44_2:
	s_mov_b32 s14, -1
	s_load_b128 s[8:11], s[0:1], 0x28
	s_waitcnt lgkmcnt(0)
	s_cmp_lt_i32 s9, 1
	s_cbranch_scc1 .LBB44_20
.LBB44_3:
	v_mbcnt_lo_u32_b32 v6, -1, 0
	s_clause 0x1
	s_load_b64 s[6:7], s[0:1], 0x20
	s_load_b32 s24, s[0:1], 0x38
	v_lshrrev_b32_e32 v2, 2, v0
	s_mul_i32 s12, s15, s9
	v_cmp_gt_i32_e64 s0, s8, v0
	v_and_b32_e32 v3, 7, v6
	s_ashr_i32 s13, s12, 31
	v_dual_mov_b32 v1, 0x7c :: v_dual_and_b32 v2, 56, v2
	v_cmp_eq_u32_e64 s1, 0, v6
	s_delay_alu instid0(VALU_DEP_3)
	v_cmp_gt_u32_e32 vcc_lo, 6, v3
	v_cmp_gt_u32_e64 s2, 32, v0
	v_cmp_eq_u32_e64 s3, 0, v0
	s_lshl_b64 s[4:5], s[12:13], 2
	s_mul_i32 s25, s15, s8
	v_cndmask_b32_e64 v4, 0, 1, vcc_lo
	v_cmp_gt_u32_e32 vcc_lo, 4, v3
	s_add_u32 s18, s22, s4
	s_mov_b32 s13, 0
	s_addc_u32 s19, s23, s5
	v_lshlrev_b32_e32 v8, 1, v4
	v_cndmask_b32_e64 v5, 0, 1, vcc_lo
	v_cmp_ne_u32_e32 vcc_lo, 7, v3
	v_lshlrev_b32_e32 v3, 3, v3
	s_delay_alu instid0(VALU_DEP_3) | instskip(SKIP_1) | instid1(VALU_DEP_1)
	v_lshlrev_b32_e32 v9, 2, v5
	v_add_co_ci_u32_e32 v7, vcc_lo, 0, v6, vcc_lo
	v_dual_mov_b32 v7, 0 :: v_dual_lshlrev_b32 v4, 2, v7
	v_add_lshl_u32 v5, v8, v6, 2
	s_delay_alu instid0(VALU_DEP_4)
	v_add_lshl_u32 v6, v9, v6, 2
	s_branch .LBB44_5
.LBB44_4:                               ;   in Loop: Header=BB44_5 Depth=1
	s_or_b32 exec_lo, exec_lo, s5
	s_add_i32 s13, s13, 1
	s_waitcnt_vscnt null, 0x0
	s_cmp_eq_u32 s13, s9
	s_barrier
	buffer_gl0_inv
	s_cbranch_scc1 .LBB44_20
.LBB44_5:                               ; =>This Loop Header: Depth=1
                                        ;     Child Loop BB44_8 Depth 2
                                        ;       Child Loop BB44_10 Depth 3
	v_dual_mov_b32 v8, -1.0 :: v_dual_mov_b32 v9, 0
	s_and_saveexec_b32 s26, s0
	s_cbranch_execz .LBB44_14
; %bb.6:                                ;   in Loop: Header=BB44_5 Depth=1
	v_dual_mov_b32 v8, -1.0 :: v_dual_mov_b32 v9, 0
	v_mov_b32_e32 v10, v0
	s_cmp_lg_u32 s13, 0
	s_mov_b32 s28, 0
	s_cselect_b32 s27, -1, 0
	s_set_inst_prefetch_distance 0x1
	s_branch .LBB44_8
	.p2align	6
.LBB44_7:                               ;   in Loop: Header=BB44_8 Depth=2
	s_or_b32 exec_lo, exec_lo, s5
	v_add_nc_u32_e32 v10, 0x100, v10
	s_delay_alu instid0(VALU_DEP_1) | instskip(SKIP_1) | instid1(SALU_CYCLE_1)
	v_cmp_le_i32_e32 vcc_lo, s8, v10
	s_or_b32 s28, vcc_lo, s28
	s_and_not1_b32 exec_lo, exec_lo, s28
	s_cbranch_execz .LBB44_13
.LBB44_8:                               ;   Parent Loop BB44_5 Depth=1
                                        ; =>  This Loop Header: Depth=2
                                        ;       Child Loop BB44_10 Depth 3
	v_add_nc_u32_e32 v11, s25, v10
	s_delay_alu instid0(VALU_DEP_1) | instskip(NEXT) | instid1(VALU_DEP_1)
	v_ashrrev_i32_e32 v12, 31, v11
	v_lshlrev_b64 v[11:12], 2, v[11:12]
	s_delay_alu instid0(VALU_DEP_1) | instskip(NEXT) | instid1(VALU_DEP_2)
	v_add_co_u32 v11, vcc_lo, s16, v11
	v_add_co_ci_u32_e32 v12, vcc_lo, s17, v12, vcc_lo
	s_and_not1_b32 vcc_lo, exec_lo, s27
	global_load_b32 v11, v[11:12], off
	v_mov_b32_e32 v12, v10
	s_cbranch_vccnz .LBB44_11
; %bb.9:                                ;   in Loop: Header=BB44_8 Depth=2
	s_mov_b32 s29, 0
	s_mov_b64 s[4:5], s[18:19]
.LBB44_10:                              ;   Parent Loop BB44_5 Depth=1
                                        ;     Parent Loop BB44_8 Depth=2
                                        ; =>    This Inner Loop Header: Depth=3
	global_load_b32 v13, v7, s[4:5]
	s_add_i32 s29, s29, 1
	s_add_u32 s4, s4, 4
	s_addc_u32 s5, s5, 0
	s_cmp_ge_u32 s29, s13
	s_waitcnt vmcnt(0)
	v_cmp_eq_u32_e32 vcc_lo, v13, v10
	v_dual_cndmask_b32 v12, v12, v9 :: v_dual_cndmask_b32 v11, v11, v8
	s_cbranch_scc0 .LBB44_10
.LBB44_11:                              ;   in Loop: Header=BB44_8 Depth=2
	s_mov_b32 s5, exec_lo
	s_waitcnt vmcnt(0)
	s_delay_alu instid0(VALU_DEP_1)
	v_cmpx_ngt_f32_e32 v8, v11
	s_cbranch_execz .LBB44_7
; %bb.12:                               ;   in Loop: Header=BB44_8 Depth=2
	v_cmp_eq_f32_e32 vcc_lo, v11, v8
	v_cmp_lt_i32_e64 s4, v9, v12
	s_delay_alu instid0(VALU_DEP_1)
	s_and_b32 vcc_lo, vcc_lo, s4
	v_dual_cndmask_b32 v8, v11, v8 :: v_dual_cndmask_b32 v9, v12, v9
	s_branch .LBB44_7
.LBB44_13:                              ;   in Loop: Header=BB44_5 Depth=1
	s_set_inst_prefetch_distance 0x2
	s_or_b32 exec_lo, exec_lo, s28
.LBB44_14:                              ;   in Loop: Header=BB44_5 Depth=1
	s_delay_alu instid0(SALU_CYCLE_1) | instskip(NEXT) | instid1(VALU_DEP_1)
	s_or_b32 exec_lo, exec_lo, s26
	v_mov_b32_dpp v10, v8 quad_perm:[1,0,3,2] row_mask:0xf bank_mask:0xf
	v_mov_b32_dpp v11, v9 quad_perm:[1,0,3,2] row_mask:0xf bank_mask:0xf
	s_delay_alu instid0(VALU_DEP_2) | instskip(NEXT) | instid1(VALU_DEP_2)
	v_cmp_eq_f32_e32 vcc_lo, v8, v10
	v_cmp_lt_i32_e64 s4, v9, v11
	s_delay_alu instid0(VALU_DEP_1) | instskip(SKIP_2) | instid1(VALU_DEP_2)
	s_and_b32 vcc_lo, vcc_lo, s4
	v_cmp_gt_f32_e64 s4, v8, v10
	v_cndmask_b32_e32 v12, v10, v8, vcc_lo
	s_or_b32 vcc_lo, s4, vcc_lo
	v_cndmask_b32_e32 v9, v11, v9, vcc_lo
	s_delay_alu instid0(VALU_DEP_2) | instskip(NEXT) | instid1(VALU_DEP_2)
	v_cndmask_b32_e64 v8, v12, v8, s4
	v_mov_b32_dpp v11, v9 quad_perm:[2,3,0,1] row_mask:0xf bank_mask:0xf
	s_delay_alu instid0(VALU_DEP_2) | instskip(NEXT) | instid1(VALU_DEP_2)
	v_mov_b32_dpp v10, v8 quad_perm:[2,3,0,1] row_mask:0xf bank_mask:0xf
	v_cmp_lt_i32_e64 s4, v9, v11
	s_delay_alu instid0(VALU_DEP_2) | instskip(NEXT) | instid1(VALU_DEP_2)
	v_cmp_eq_f32_e32 vcc_lo, v8, v10
	s_and_b32 vcc_lo, vcc_lo, s4
	v_cmp_gt_f32_e64 s4, v8, v10
	v_cndmask_b32_e32 v12, v10, v8, vcc_lo
	s_delay_alu instid0(VALU_DEP_2) | instskip(SKIP_1) | instid1(VALU_DEP_2)
	s_or_b32 vcc_lo, s4, vcc_lo
	v_cndmask_b32_e32 v9, v11, v9, vcc_lo
	v_cndmask_b32_e64 v8, v12, v8, s4
	s_delay_alu instid0(VALU_DEP_2) | instskip(NEXT) | instid1(VALU_DEP_2)
	v_mov_b32_dpp v11, v9 row_ror:4 row_mask:0xf bank_mask:0xf
	v_mov_b32_dpp v10, v8 row_ror:4 row_mask:0xf bank_mask:0xf
	s_delay_alu instid0(VALU_DEP_2) | instskip(NEXT) | instid1(VALU_DEP_2)
	v_cmp_lt_i32_e64 s4, v9, v11
	v_cmp_eq_f32_e32 vcc_lo, v8, v10
	s_delay_alu instid0(VALU_DEP_2) | instskip(SKIP_2) | instid1(VALU_DEP_2)
	s_and_b32 vcc_lo, vcc_lo, s4
	v_cmp_gt_f32_e64 s4, v8, v10
	v_cndmask_b32_e32 v12, v10, v8, vcc_lo
	s_or_b32 vcc_lo, s4, vcc_lo
	v_cndmask_b32_e32 v9, v11, v9, vcc_lo
	s_delay_alu instid0(VALU_DEP_2) | instskip(NEXT) | instid1(VALU_DEP_2)
	v_cndmask_b32_e64 v8, v12, v8, s4
	v_mov_b32_dpp v11, v9 row_ror:8 row_mask:0xf bank_mask:0xf
	s_delay_alu instid0(VALU_DEP_2) | instskip(NEXT) | instid1(VALU_DEP_2)
	v_mov_b32_dpp v10, v8 row_ror:8 row_mask:0xf bank_mask:0xf
	v_cmp_lt_i32_e64 s4, v9, v11
	s_delay_alu instid0(VALU_DEP_2) | instskip(NEXT) | instid1(VALU_DEP_2)
	v_cmp_eq_f32_e32 vcc_lo, v8, v10
	s_and_b32 vcc_lo, vcc_lo, s4
	v_cmp_gt_f32_e64 s4, v8, v10
	v_cndmask_b32_e32 v12, v10, v8, vcc_lo
	s_delay_alu instid0(VALU_DEP_2) | instskip(SKIP_1) | instid1(VALU_DEP_2)
	s_or_b32 vcc_lo, s4, vcc_lo
	v_cndmask_b32_e32 v9, v11, v9, vcc_lo
	v_cndmask_b32_e64 v8, v12, v8, s4
	ds_swizzle_b32 v11, v9 offset:swizzle(BROADCAST,32,15)
	ds_swizzle_b32 v10, v8 offset:swizzle(BROADCAST,32,15)
	s_waitcnt lgkmcnt(0)
	v_cmp_lt_i32_e64 s4, v9, v11
	v_cmp_eq_f32_e32 vcc_lo, v8, v10
	s_delay_alu instid0(VALU_DEP_2) | instskip(SKIP_2) | instid1(VALU_DEP_2)
	s_and_b32 vcc_lo, vcc_lo, s4
	v_cmp_gt_f32_e64 s4, v8, v10
	v_cndmask_b32_e32 v12, v10, v8, vcc_lo
	s_or_b32 vcc_lo, s4, vcc_lo
	v_cndmask_b32_e32 v9, v11, v9, vcc_lo
	s_delay_alu instid0(VALU_DEP_2)
	v_cndmask_b32_e64 v8, v12, v8, s4
	ds_bpermute_b32 v9, v1, v9
	ds_bpermute_b32 v8, v1, v8
	s_and_saveexec_b32 s4, s1
	s_cbranch_execz .LBB44_16
; %bb.15:                               ;   in Loop: Header=BB44_5 Depth=1
	s_waitcnt lgkmcnt(0)
	ds_store_2addr_b32 v2, v9, v8 offset1:1
.LBB44_16:                              ;   in Loop: Header=BB44_5 Depth=1
	s_or_b32 exec_lo, exec_lo, s4
	s_waitcnt lgkmcnt(0)
	s_barrier
	buffer_gl0_inv
	s_and_saveexec_b32 s26, s2
	s_cbranch_execz .LBB44_18
; %bb.17:                               ;   in Loop: Header=BB44_5 Depth=1
	ds_load_2addr_b32 v[8:9], v3 offset1:1
	s_waitcnt lgkmcnt(0)
	ds_bpermute_b32 v10, v4, v9
	ds_bpermute_b32 v11, v4, v8
	s_waitcnt lgkmcnt(1)
	v_cmp_eq_f32_e32 vcc_lo, v9, v10
	s_waitcnt lgkmcnt(0)
	v_cmp_lt_i32_e64 s4, v11, v8
	v_cmp_lt_f32_e64 s5, v9, v10
	s_delay_alu instid0(VALU_DEP_2)
	s_and_b32 s4, vcc_lo, s4
	s_delay_alu instid0(VALU_DEP_1) | instid1(SALU_CYCLE_1)
	s_or_b32 vcc_lo, s5, s4
	v_dual_cndmask_b32 v9, v9, v10 :: v_dual_cndmask_b32 v8, v8, v11
	ds_bpermute_b32 v10, v5, v9
	ds_bpermute_b32 v11, v5, v8
	s_waitcnt lgkmcnt(1)
	v_cmp_eq_f32_e32 vcc_lo, v9, v10
	s_waitcnt lgkmcnt(0)
	v_cmp_lt_i32_e64 s4, v11, v8
	v_cmp_lt_f32_e64 s5, v9, v10
	s_delay_alu instid0(VALU_DEP_2)
	s_and_b32 s4, vcc_lo, s4
	s_delay_alu instid0(VALU_DEP_1) | instid1(SALU_CYCLE_1)
	s_or_b32 vcc_lo, s5, s4
	v_dual_cndmask_b32 v9, v9, v10 :: v_dual_cndmask_b32 v10, v8, v11
	;; [unrolled: 12-line block ×3, first 2 shown]
.LBB44_18:                              ;   in Loop: Header=BB44_5 Depth=1
	s_or_b32 exec_lo, exec_lo, s26
	s_and_saveexec_b32 s5, s3
	s_cbranch_execz .LBB44_4
; %bb.19:                               ;   in Loop: Header=BB44_5 Depth=1
	s_delay_alu instid0(VALU_DEP_1) | instskip(SKIP_4) | instid1(VALU_DEP_2)
	v_cmp_le_i32_e32 vcc_lo, s10, v9
	v_cmp_gt_i32_e64 s4, s11, v9
	s_add_i32 s26, s13, s12
	v_subrev_nc_u32_e32 v9, s10, v9
	s_ashr_i32 s27, s26, 31
	s_and_b32 s4, vcc_lo, s4
	s_lshl_b64 s[26:27], s[26:27], 2
	s_and_b32 vcc_lo, s14, s4
	s_add_u32 s28, s20, s26
	s_addc_u32 s29, s21, s27
	s_mul_i32 s4, s13, s24
	s_add_u32 s30, s22, s26
	s_addc_u32 s31, s23, s27
	s_add_i32 s4, s4, s15
	v_cndmask_b32_e32 v9, s8, v9, vcc_lo
	v_mov_b32_e32 v10, s4
	s_add_u32 s26, s6, s26
	s_addc_u32 s27, s7, s27
	s_clause 0x2
	global_store_b32 v7, v8, s[28:29]
	global_store_b32 v7, v9, s[30:31]
	;; [unrolled: 1-line block ×3, first 2 shown]
	s_branch .LBB44_4
.LBB44_20:
	s_endpgm
	.section	.rodata,"a",@progbits
	.p2align	6, 0x0
	.amdhsa_kernel _ZN4vllm3moe7moeTopKILi256EjEEvPKfPKbPfPT0_Piiiii
		.amdhsa_group_segment_fixed_size 64
		.amdhsa_private_segment_fixed_size 0
		.amdhsa_kernarg_size 312
		.amdhsa_user_sgpr_count 15
		.amdhsa_user_sgpr_dispatch_ptr 0
		.amdhsa_user_sgpr_queue_ptr 0
		.amdhsa_user_sgpr_kernarg_segment_ptr 1
		.amdhsa_user_sgpr_dispatch_id 0
		.amdhsa_user_sgpr_private_segment_size 0
		.amdhsa_wavefront_size32 1
		.amdhsa_uses_dynamic_stack 0
		.amdhsa_enable_private_segment 0
		.amdhsa_system_sgpr_workgroup_id_x 1
		.amdhsa_system_sgpr_workgroup_id_y 0
		.amdhsa_system_sgpr_workgroup_id_z 0
		.amdhsa_system_sgpr_workgroup_info 0
		.amdhsa_system_vgpr_workitem_id 0
		.amdhsa_next_free_vgpr 14
		.amdhsa_next_free_sgpr 32
		.amdhsa_reserve_vcc 1
		.amdhsa_float_round_mode_32 0
		.amdhsa_float_round_mode_16_64 0
		.amdhsa_float_denorm_mode_32 3
		.amdhsa_float_denorm_mode_16_64 3
		.amdhsa_dx10_clamp 1
		.amdhsa_ieee_mode 1
		.amdhsa_fp16_overflow 0
		.amdhsa_workgroup_processor_mode 1
		.amdhsa_memory_ordered 1
		.amdhsa_forward_progress 0
		.amdhsa_shared_vgpr_count 0
		.amdhsa_exception_fp_ieee_invalid_op 0
		.amdhsa_exception_fp_denorm_src 0
		.amdhsa_exception_fp_ieee_div_zero 0
		.amdhsa_exception_fp_ieee_overflow 0
		.amdhsa_exception_fp_ieee_underflow 0
		.amdhsa_exception_fp_ieee_inexact 0
		.amdhsa_exception_int_div_zero 0
	.end_amdhsa_kernel
	.section	.text._ZN4vllm3moe7moeTopKILi256EjEEvPKfPKbPfPT0_Piiiii,"axG",@progbits,_ZN4vllm3moe7moeTopKILi256EjEEvPKfPKbPfPT0_Piiiii,comdat
.Lfunc_end44:
	.size	_ZN4vllm3moe7moeTopKILi256EjEEvPKfPKbPfPT0_Piiiii, .Lfunc_end44-_ZN4vllm3moe7moeTopKILi256EjEEvPKfPKbPfPT0_Piiiii
                                        ; -- End function
	.section	.AMDGPU.csdata,"",@progbits
; Kernel info:
; codeLenInByte = 1368
; NumSgprs: 34
; NumVgprs: 14
; ScratchSize: 0
; MemoryBound: 0
; FloatMode: 240
; IeeeMode: 1
; LDSByteSize: 64 bytes/workgroup (compile time only)
; SGPRBlocks: 4
; VGPRBlocks: 1
; NumSGPRsForWavesPerEU: 34
; NumVGPRsForWavesPerEU: 14
; Occupancy: 16
; WaveLimiterHint : 0
; COMPUTE_PGM_RSRC2:SCRATCH_EN: 0
; COMPUTE_PGM_RSRC2:USER_SGPR: 15
; COMPUTE_PGM_RSRC2:TRAP_HANDLER: 0
; COMPUTE_PGM_RSRC2:TGID_X_EN: 1
; COMPUTE_PGM_RSRC2:TGID_Y_EN: 0
; COMPUTE_PGM_RSRC2:TGID_Z_EN: 0
; COMPUTE_PGM_RSRC2:TIDIG_COMP_CNT: 0
	.section	.text._ZN4vllm3moe17topkGatingSoftmaxILi1ELi1ELi4ELi4ELi64ElEEvPKfPKbPfiPT4_Piiii,"axG",@progbits,_ZN4vllm3moe17topkGatingSoftmaxILi1ELi1ELi4ELi4ELi64ElEEvPKfPKbPfiPT4_Piiii,comdat
	.protected	_ZN4vllm3moe17topkGatingSoftmaxILi1ELi1ELi4ELi4ELi64ElEEvPKfPKbPfiPT4_Piiii ; -- Begin function _ZN4vllm3moe17topkGatingSoftmaxILi1ELi1ELi4ELi4ELi64ElEEvPKfPKbPfiPT4_Piiii
	.globl	_ZN4vllm3moe17topkGatingSoftmaxILi1ELi1ELi4ELi4ELi64ElEEvPKfPKbPfiPT4_Piiii
	.p2align	8
	.type	_ZN4vllm3moe17topkGatingSoftmaxILi1ELi1ELi4ELi4ELi64ElEEvPKfPKbPfiPT4_Piiii,@function
_ZN4vllm3moe17topkGatingSoftmaxILi1ELi1ELi4ELi4ELi64ElEEvPKfPKbPfiPT4_Piiii: ; @_ZN4vllm3moe17topkGatingSoftmaxILi1ELi1ELi4ELi4ELi64ElEEvPKfPKbPfiPT4_Piiii
; %bb.0:
	s_load_b32 s12, s[0:1], 0x18
	v_bfe_u32 v1, v0, 10, 10
	v_and_b32_e32 v0, 0x3ff, v0
	s_lshl_b32 s2, s15, 8
	s_delay_alu instid0(VALU_DEP_2) | instskip(NEXT) | instid1(VALU_DEP_1)
	v_lshlrev_b32_e32 v1, 6, v1
	v_add3_u32 v0, v1, v0, s2
	s_mov_b32 s2, exec_lo
	s_waitcnt lgkmcnt(0)
	s_delay_alu instid0(VALU_DEP_1)
	v_cmpx_gt_i32_e64 s12, v0
	s_cbranch_execz .LBB45_6
; %bb.1:
	s_load_b128 s[8:11], s[0:1], 0x0
	v_ashrrev_i32_e32 v1, 31, v0
	s_waitcnt lgkmcnt(0)
	s_cmp_eq_u64 s[10:11], 0
	s_cbranch_scc1 .LBB45_3
; %bb.2:
	v_add_co_u32 v2, vcc_lo, s10, v0
	v_add_co_ci_u32_e32 v3, vcc_lo, s11, v1, vcc_lo
	global_load_u8 v2, v[2:3], off
	s_waitcnt vmcnt(0)
	v_and_b32_e32 v2, 1, v2
	s_delay_alu instid0(VALU_DEP_1) | instskip(SKIP_1) | instid1(SALU_CYCLE_1)
	v_cmp_eq_u32_e32 vcc_lo, 1, v2
	s_xor_b32 s2, vcc_lo, -1
	s_or_not1_b32 s10, s2, exec_lo
	s_load_b128 s[4:7], s[0:1], 0x30
	s_waitcnt lgkmcnt(0)
	s_cmp_lt_i32 s4, 1
	s_cbranch_scc0 .LBB45_4
	s_branch .LBB45_6
.LBB45_3:
	s_mov_b32 s10, -1
	s_load_b128 s[4:7], s[0:1], 0x30
	s_waitcnt lgkmcnt(0)
	s_cmp_lt_i32 s4, 1
	s_cbranch_scc1 .LBB45_6
.LBB45_4:
	v_lshlrev_b64 v[1:2], 2, v[0:1]
	s_cmp_lt_i32 s5, 1
	s_cselect_b32 s7, -1, 0
	s_cmp_gt_i32 s6, 0
	s_cselect_b32 s6, -1, 0
	s_delay_alu instid0(VALU_DEP_1)
	v_add_co_u32 v1, vcc_lo, s8, v1
	v_add_co_ci_u32_e32 v2, vcc_lo, s9, v2, vcc_lo
	s_sub_i32 s5, 0, s5
	s_and_b32 s6, s7, s6
	s_ashr_i32 s7, s5, 31
	global_load_b32 v1, v[1:2], off
	s_clause 0x1
	s_load_b64 s[8:9], s[0:1], 0x10
	s_load_b128 s[0:3], s[0:1], 0x20
	s_and_b32 s6, s10, s6
	s_waitcnt vmcnt(0)
	v_sub_f32_e32 v1, v1, v1
	s_delay_alu instid0(VALU_DEP_1) | instskip(NEXT) | instid1(VALU_DEP_1)
	v_mul_f32_e32 v2, 0x3fb8aa3b, v1
	v_fma_f32 v3, 0x3fb8aa3b, v1, -v2
	v_rndne_f32_e32 v4, v2
	s_delay_alu instid0(VALU_DEP_1) | instskip(SKIP_1) | instid1(VALU_DEP_4)
	v_sub_f32_e32 v2, v2, v4
	v_cmp_ngt_f32_e32 vcc_lo, 0xc2ce8ed0, v1
	v_fmamk_f32 v3, v1, 0x32a5705f, v3
	s_delay_alu instid0(VALU_DEP_1) | instskip(SKIP_1) | instid1(VALU_DEP_2)
	v_add_f32_e32 v2, v2, v3
	v_cvt_i32_f32_e32 v3, v4
	v_exp_f32_e32 v2, v2
	s_waitcnt_depctr 0xfff
	v_ldexp_f32 v2, v2, v3
	v_mul_lo_u32 v3, v0, s4
	s_delay_alu instid0(VALU_DEP_2) | instskip(SKIP_1) | instid1(VALU_DEP_3)
	v_cndmask_b32_e32 v2, 0, v2, vcc_lo
	v_cmp_nlt_f32_e32 vcc_lo, 0x42b17218, v1
	v_ashrrev_i32_e32 v4, 31, v3
	s_delay_alu instid0(VALU_DEP_3) | instskip(SKIP_1) | instid1(VALU_DEP_3)
	v_cndmask_b32_e32 v9, 0x7f800000, v2, vcc_lo
	v_cndmask_b32_e64 v2, 0, s7, s6
	v_lshlrev_b64 v[7:8], 2, v[3:4]
	s_delay_alu instid0(VALU_DEP_3) | instskip(SKIP_1) | instid1(VALU_DEP_2)
	v_div_scale_f32 v5, null, v9, v9, 1.0
	v_div_scale_f32 v6, vcc_lo, 1.0, v9, 1.0
	v_rcp_f32_e32 v10, v5
	s_waitcnt_depctr 0xfff
	v_fma_f32 v1, -v5, v10, 1.0
	s_delay_alu instid0(VALU_DEP_1) | instskip(NEXT) | instid1(VALU_DEP_1)
	v_fmac_f32_e32 v10, v1, v10
	v_mul_f32_e32 v11, v6, v10
	s_delay_alu instid0(VALU_DEP_1) | instskip(NEXT) | instid1(VALU_DEP_1)
	v_fma_f32 v1, -v5, v11, v6
	v_fmac_f32_e32 v11, v1, v10
	v_cndmask_b32_e64 v1, 1, s5, s6
	s_delay_alu instid0(VALU_DEP_2) | instskip(SKIP_1) | instid1(VALU_DEP_2)
	v_fma_f32 v12, -v5, v11, v6
	v_lshlrev_b64 v[5:6], 3, v[3:4]
	v_div_fmas_f32 v10, v12, v10, v11
	s_waitcnt lgkmcnt(0)
	v_add_co_u32 v3, vcc_lo, s8, v7
	v_add_co_ci_u32_e32 v4, vcc_lo, s9, v8, vcc_lo
	s_delay_alu instid0(VALU_DEP_3) | instskip(SKIP_3) | instid1(VALU_DEP_4)
	v_div_fixup_f32 v10, v10, v9, 1.0
	v_add_co_u32 v5, vcc_lo, s0, v5
	v_add_co_ci_u32_e32 v6, vcc_lo, s1, v6, vcc_lo
	v_add_co_u32 v7, vcc_lo, s2, v7
	v_mul_f32_e32 v9, v9, v10
	v_add_co_ci_u32_e32 v8, vcc_lo, s3, v8, vcc_lo
	s_mov_b32 s0, 0
	.p2align	6
.LBB45_5:                               ; =>This Inner Loop Header: Depth=1
	global_store_b32 v[3:4], v9, off
	global_store_b64 v[5:6], v[1:2], off
	global_store_b32 v[7:8], v0, off
	v_add_co_u32 v3, vcc_lo, v3, 4
	v_add_co_ci_u32_e32 v4, vcc_lo, 0, v4, vcc_lo
	v_add_co_u32 v5, vcc_lo, v5, 8
	s_add_i32 s0, s0, 1
	v_add_co_ci_u32_e32 v6, vcc_lo, 0, v6, vcc_lo
	v_add_co_u32 v7, vcc_lo, v7, 4
	s_cmp_ge_i32 s0, s4
	v_add_co_ci_u32_e32 v8, vcc_lo, 0, v8, vcc_lo
	s_cselect_b32 vcc_lo, -1, 0
	v_add_nc_u32_e32 v0, s12, v0
	v_cndmask_b32_e32 v9, 0xc61c4000, v9, vcc_lo
	s_cmp_lg_u32 s4, s0
	s_cbranch_scc1 .LBB45_5
.LBB45_6:
	s_nop 0
	s_sendmsg sendmsg(MSG_DEALLOC_VGPRS)
	s_endpgm
	.section	.rodata,"a",@progbits
	.p2align	6, 0x0
	.amdhsa_kernel _ZN4vllm3moe17topkGatingSoftmaxILi1ELi1ELi4ELi4ELi64ElEEvPKfPKbPfiPT4_Piiii
		.amdhsa_group_segment_fixed_size 0
		.amdhsa_private_segment_fixed_size 0
		.amdhsa_kernarg_size 60
		.amdhsa_user_sgpr_count 15
		.amdhsa_user_sgpr_dispatch_ptr 0
		.amdhsa_user_sgpr_queue_ptr 0
		.amdhsa_user_sgpr_kernarg_segment_ptr 1
		.amdhsa_user_sgpr_dispatch_id 0
		.amdhsa_user_sgpr_private_segment_size 0
		.amdhsa_wavefront_size32 1
		.amdhsa_uses_dynamic_stack 0
		.amdhsa_enable_private_segment 0
		.amdhsa_system_sgpr_workgroup_id_x 1
		.amdhsa_system_sgpr_workgroup_id_y 0
		.amdhsa_system_sgpr_workgroup_id_z 0
		.amdhsa_system_sgpr_workgroup_info 0
		.amdhsa_system_vgpr_workitem_id 1
		.amdhsa_next_free_vgpr 13
		.amdhsa_next_free_sgpr 16
		.amdhsa_reserve_vcc 1
		.amdhsa_float_round_mode_32 0
		.amdhsa_float_round_mode_16_64 0
		.amdhsa_float_denorm_mode_32 3
		.amdhsa_float_denorm_mode_16_64 3
		.amdhsa_dx10_clamp 1
		.amdhsa_ieee_mode 1
		.amdhsa_fp16_overflow 0
		.amdhsa_workgroup_processor_mode 1
		.amdhsa_memory_ordered 1
		.amdhsa_forward_progress 0
		.amdhsa_shared_vgpr_count 0
		.amdhsa_exception_fp_ieee_invalid_op 0
		.amdhsa_exception_fp_denorm_src 0
		.amdhsa_exception_fp_ieee_div_zero 0
		.amdhsa_exception_fp_ieee_overflow 0
		.amdhsa_exception_fp_ieee_underflow 0
		.amdhsa_exception_fp_ieee_inexact 0
		.amdhsa_exception_int_div_zero 0
	.end_amdhsa_kernel
	.section	.text._ZN4vllm3moe17topkGatingSoftmaxILi1ELi1ELi4ELi4ELi64ElEEvPKfPKbPfiPT4_Piiii,"axG",@progbits,_ZN4vllm3moe17topkGatingSoftmaxILi1ELi1ELi4ELi4ELi64ElEEvPKfPKbPfiPT4_Piiii,comdat
.Lfunc_end45:
	.size	_ZN4vllm3moe17topkGatingSoftmaxILi1ELi1ELi4ELi4ELi64ElEEvPKfPKbPfiPT4_Piiii, .Lfunc_end45-_ZN4vllm3moe17topkGatingSoftmaxILi1ELi1ELi4ELi4ELi64ElEEvPKfPKbPfiPT4_Piiii
                                        ; -- End function
	.section	.AMDGPU.csdata,"",@progbits
; Kernel info:
; codeLenInByte = 676
; NumSgprs: 18
; NumVgprs: 13
; ScratchSize: 0
; MemoryBound: 0
; FloatMode: 240
; IeeeMode: 1
; LDSByteSize: 0 bytes/workgroup (compile time only)
; SGPRBlocks: 2
; VGPRBlocks: 1
; NumSGPRsForWavesPerEU: 18
; NumVGPRsForWavesPerEU: 13
; Occupancy: 16
; WaveLimiterHint : 0
; COMPUTE_PGM_RSRC2:SCRATCH_EN: 0
; COMPUTE_PGM_RSRC2:USER_SGPR: 15
; COMPUTE_PGM_RSRC2:TRAP_HANDLER: 0
; COMPUTE_PGM_RSRC2:TGID_X_EN: 1
; COMPUTE_PGM_RSRC2:TGID_Y_EN: 0
; COMPUTE_PGM_RSRC2:TGID_Z_EN: 0
; COMPUTE_PGM_RSRC2:TIDIG_COMP_CNT: 1
	.section	.text._ZN4vllm3moe17topkGatingSoftmaxILi1ELi1ELi4ELi4ELi32ElEEvPKfPKbPfiPT4_Piiii,"axG",@progbits,_ZN4vllm3moe17topkGatingSoftmaxILi1ELi1ELi4ELi4ELi32ElEEvPKfPKbPfiPT4_Piiii,comdat
	.protected	_ZN4vllm3moe17topkGatingSoftmaxILi1ELi1ELi4ELi4ELi32ElEEvPKfPKbPfiPT4_Piiii ; -- Begin function _ZN4vllm3moe17topkGatingSoftmaxILi1ELi1ELi4ELi4ELi32ElEEvPKfPKbPfiPT4_Piiii
	.globl	_ZN4vllm3moe17topkGatingSoftmaxILi1ELi1ELi4ELi4ELi32ElEEvPKfPKbPfiPT4_Piiii
	.p2align	8
	.type	_ZN4vllm3moe17topkGatingSoftmaxILi1ELi1ELi4ELi4ELi32ElEEvPKfPKbPfiPT4_Piiii,@function
_ZN4vllm3moe17topkGatingSoftmaxILi1ELi1ELi4ELi4ELi32ElEEvPKfPKbPfiPT4_Piiii: ; @_ZN4vllm3moe17topkGatingSoftmaxILi1ELi1ELi4ELi4ELi32ElEEvPKfPKbPfiPT4_Piiii
; %bb.0:
	s_load_b32 s12, s[0:1], 0x18
	v_bfe_u32 v1, v0, 10, 10
	v_and_b32_e32 v0, 0x3ff, v0
	s_lshl_b32 s2, s15, 7
	s_delay_alu instid0(VALU_DEP_2) | instskip(NEXT) | instid1(VALU_DEP_1)
	v_lshlrev_b32_e32 v1, 5, v1
	v_add3_u32 v0, v1, v0, s2
	s_mov_b32 s2, exec_lo
	s_waitcnt lgkmcnt(0)
	s_delay_alu instid0(VALU_DEP_1)
	v_cmpx_gt_i32_e64 s12, v0
	s_cbranch_execz .LBB46_6
; %bb.1:
	s_load_b128 s[8:11], s[0:1], 0x0
	v_ashrrev_i32_e32 v1, 31, v0
	s_waitcnt lgkmcnt(0)
	s_cmp_eq_u64 s[10:11], 0
	s_cbranch_scc1 .LBB46_3
; %bb.2:
	v_add_co_u32 v2, vcc_lo, s10, v0
	v_add_co_ci_u32_e32 v3, vcc_lo, s11, v1, vcc_lo
	global_load_u8 v2, v[2:3], off
	s_waitcnt vmcnt(0)
	v_and_b32_e32 v2, 1, v2
	s_delay_alu instid0(VALU_DEP_1) | instskip(SKIP_1) | instid1(SALU_CYCLE_1)
	v_cmp_eq_u32_e32 vcc_lo, 1, v2
	s_xor_b32 s2, vcc_lo, -1
	s_or_not1_b32 s10, s2, exec_lo
	s_load_b128 s[4:7], s[0:1], 0x30
	s_waitcnt lgkmcnt(0)
	s_cmp_lt_i32 s4, 1
	s_cbranch_scc0 .LBB46_4
	s_branch .LBB46_6
.LBB46_3:
	s_mov_b32 s10, -1
	s_load_b128 s[4:7], s[0:1], 0x30
	s_waitcnt lgkmcnt(0)
	s_cmp_lt_i32 s4, 1
	s_cbranch_scc1 .LBB46_6
.LBB46_4:
	v_lshlrev_b64 v[1:2], 2, v[0:1]
	s_cmp_lt_i32 s5, 1
	s_cselect_b32 s7, -1, 0
	s_cmp_gt_i32 s6, 0
	s_cselect_b32 s6, -1, 0
	s_delay_alu instid0(VALU_DEP_1)
	v_add_co_u32 v1, vcc_lo, s8, v1
	v_add_co_ci_u32_e32 v2, vcc_lo, s9, v2, vcc_lo
	s_sub_i32 s5, 0, s5
	s_and_b32 s6, s7, s6
	s_ashr_i32 s7, s5, 31
	global_load_b32 v1, v[1:2], off
	s_clause 0x1
	s_load_b64 s[8:9], s[0:1], 0x10
	s_load_b128 s[0:3], s[0:1], 0x20
	s_and_b32 s6, s10, s6
	s_waitcnt vmcnt(0)
	v_sub_f32_e32 v1, v1, v1
	s_delay_alu instid0(VALU_DEP_1) | instskip(NEXT) | instid1(VALU_DEP_1)
	v_mul_f32_e32 v2, 0x3fb8aa3b, v1
	v_fma_f32 v3, 0x3fb8aa3b, v1, -v2
	v_rndne_f32_e32 v4, v2
	s_delay_alu instid0(VALU_DEP_1) | instskip(SKIP_1) | instid1(VALU_DEP_4)
	v_sub_f32_e32 v2, v2, v4
	v_cmp_ngt_f32_e32 vcc_lo, 0xc2ce8ed0, v1
	v_fmamk_f32 v3, v1, 0x32a5705f, v3
	s_delay_alu instid0(VALU_DEP_1) | instskip(SKIP_1) | instid1(VALU_DEP_2)
	v_add_f32_e32 v2, v2, v3
	v_cvt_i32_f32_e32 v3, v4
	v_exp_f32_e32 v2, v2
	s_waitcnt_depctr 0xfff
	v_ldexp_f32 v2, v2, v3
	v_mul_lo_u32 v3, v0, s4
	s_delay_alu instid0(VALU_DEP_2) | instskip(SKIP_1) | instid1(VALU_DEP_3)
	v_cndmask_b32_e32 v2, 0, v2, vcc_lo
	v_cmp_nlt_f32_e32 vcc_lo, 0x42b17218, v1
	v_ashrrev_i32_e32 v4, 31, v3
	s_delay_alu instid0(VALU_DEP_3) | instskip(SKIP_1) | instid1(VALU_DEP_3)
	v_cndmask_b32_e32 v9, 0x7f800000, v2, vcc_lo
	v_cndmask_b32_e64 v2, 0, s7, s6
	v_lshlrev_b64 v[7:8], 2, v[3:4]
	s_delay_alu instid0(VALU_DEP_3) | instskip(SKIP_1) | instid1(VALU_DEP_2)
	v_div_scale_f32 v5, null, v9, v9, 1.0
	v_div_scale_f32 v6, vcc_lo, 1.0, v9, 1.0
	v_rcp_f32_e32 v10, v5
	s_waitcnt_depctr 0xfff
	v_fma_f32 v1, -v5, v10, 1.0
	s_delay_alu instid0(VALU_DEP_1) | instskip(NEXT) | instid1(VALU_DEP_1)
	v_fmac_f32_e32 v10, v1, v10
	v_mul_f32_e32 v11, v6, v10
	s_delay_alu instid0(VALU_DEP_1) | instskip(NEXT) | instid1(VALU_DEP_1)
	v_fma_f32 v1, -v5, v11, v6
	v_fmac_f32_e32 v11, v1, v10
	v_cndmask_b32_e64 v1, 1, s5, s6
	s_delay_alu instid0(VALU_DEP_2) | instskip(SKIP_1) | instid1(VALU_DEP_2)
	v_fma_f32 v12, -v5, v11, v6
	v_lshlrev_b64 v[5:6], 3, v[3:4]
	v_div_fmas_f32 v10, v12, v10, v11
	s_waitcnt lgkmcnt(0)
	v_add_co_u32 v3, vcc_lo, s8, v7
	v_add_co_ci_u32_e32 v4, vcc_lo, s9, v8, vcc_lo
	s_delay_alu instid0(VALU_DEP_3) | instskip(SKIP_3) | instid1(VALU_DEP_4)
	v_div_fixup_f32 v10, v10, v9, 1.0
	v_add_co_u32 v5, vcc_lo, s0, v5
	v_add_co_ci_u32_e32 v6, vcc_lo, s1, v6, vcc_lo
	v_add_co_u32 v7, vcc_lo, s2, v7
	v_mul_f32_e32 v9, v9, v10
	v_add_co_ci_u32_e32 v8, vcc_lo, s3, v8, vcc_lo
	s_mov_b32 s0, 0
	.p2align	6
.LBB46_5:                               ; =>This Inner Loop Header: Depth=1
	global_store_b32 v[3:4], v9, off
	global_store_b64 v[5:6], v[1:2], off
	global_store_b32 v[7:8], v0, off
	v_add_co_u32 v3, vcc_lo, v3, 4
	v_add_co_ci_u32_e32 v4, vcc_lo, 0, v4, vcc_lo
	v_add_co_u32 v5, vcc_lo, v5, 8
	s_add_i32 s0, s0, 1
	v_add_co_ci_u32_e32 v6, vcc_lo, 0, v6, vcc_lo
	v_add_co_u32 v7, vcc_lo, v7, 4
	s_cmp_ge_i32 s0, s4
	v_add_co_ci_u32_e32 v8, vcc_lo, 0, v8, vcc_lo
	s_cselect_b32 vcc_lo, -1, 0
	v_add_nc_u32_e32 v0, s12, v0
	v_cndmask_b32_e32 v9, 0xc61c4000, v9, vcc_lo
	s_cmp_lg_u32 s4, s0
	s_cbranch_scc1 .LBB46_5
.LBB46_6:
	s_nop 0
	s_sendmsg sendmsg(MSG_DEALLOC_VGPRS)
	s_endpgm
	.section	.rodata,"a",@progbits
	.p2align	6, 0x0
	.amdhsa_kernel _ZN4vllm3moe17topkGatingSoftmaxILi1ELi1ELi4ELi4ELi32ElEEvPKfPKbPfiPT4_Piiii
		.amdhsa_group_segment_fixed_size 0
		.amdhsa_private_segment_fixed_size 0
		.amdhsa_kernarg_size 60
		.amdhsa_user_sgpr_count 15
		.amdhsa_user_sgpr_dispatch_ptr 0
		.amdhsa_user_sgpr_queue_ptr 0
		.amdhsa_user_sgpr_kernarg_segment_ptr 1
		.amdhsa_user_sgpr_dispatch_id 0
		.amdhsa_user_sgpr_private_segment_size 0
		.amdhsa_wavefront_size32 1
		.amdhsa_uses_dynamic_stack 0
		.amdhsa_enable_private_segment 0
		.amdhsa_system_sgpr_workgroup_id_x 1
		.amdhsa_system_sgpr_workgroup_id_y 0
		.amdhsa_system_sgpr_workgroup_id_z 0
		.amdhsa_system_sgpr_workgroup_info 0
		.amdhsa_system_vgpr_workitem_id 1
		.amdhsa_next_free_vgpr 13
		.amdhsa_next_free_sgpr 16
		.amdhsa_reserve_vcc 1
		.amdhsa_float_round_mode_32 0
		.amdhsa_float_round_mode_16_64 0
		.amdhsa_float_denorm_mode_32 3
		.amdhsa_float_denorm_mode_16_64 3
		.amdhsa_dx10_clamp 1
		.amdhsa_ieee_mode 1
		.amdhsa_fp16_overflow 0
		.amdhsa_workgroup_processor_mode 1
		.amdhsa_memory_ordered 1
		.amdhsa_forward_progress 0
		.amdhsa_shared_vgpr_count 0
		.amdhsa_exception_fp_ieee_invalid_op 0
		.amdhsa_exception_fp_denorm_src 0
		.amdhsa_exception_fp_ieee_div_zero 0
		.amdhsa_exception_fp_ieee_overflow 0
		.amdhsa_exception_fp_ieee_underflow 0
		.amdhsa_exception_fp_ieee_inexact 0
		.amdhsa_exception_int_div_zero 0
	.end_amdhsa_kernel
	.section	.text._ZN4vllm3moe17topkGatingSoftmaxILi1ELi1ELi4ELi4ELi32ElEEvPKfPKbPfiPT4_Piiii,"axG",@progbits,_ZN4vllm3moe17topkGatingSoftmaxILi1ELi1ELi4ELi4ELi32ElEEvPKfPKbPfiPT4_Piiii,comdat
.Lfunc_end46:
	.size	_ZN4vllm3moe17topkGatingSoftmaxILi1ELi1ELi4ELi4ELi32ElEEvPKfPKbPfiPT4_Piiii, .Lfunc_end46-_ZN4vllm3moe17topkGatingSoftmaxILi1ELi1ELi4ELi4ELi32ElEEvPKfPKbPfiPT4_Piiii
                                        ; -- End function
	.section	.AMDGPU.csdata,"",@progbits
; Kernel info:
; codeLenInByte = 676
; NumSgprs: 18
; NumVgprs: 13
; ScratchSize: 0
; MemoryBound: 0
; FloatMode: 240
; IeeeMode: 1
; LDSByteSize: 0 bytes/workgroup (compile time only)
; SGPRBlocks: 2
; VGPRBlocks: 1
; NumSGPRsForWavesPerEU: 18
; NumVGPRsForWavesPerEU: 13
; Occupancy: 16
; WaveLimiterHint : 0
; COMPUTE_PGM_RSRC2:SCRATCH_EN: 0
; COMPUTE_PGM_RSRC2:USER_SGPR: 15
; COMPUTE_PGM_RSRC2:TRAP_HANDLER: 0
; COMPUTE_PGM_RSRC2:TGID_X_EN: 1
; COMPUTE_PGM_RSRC2:TGID_Y_EN: 0
; COMPUTE_PGM_RSRC2:TGID_Z_EN: 0
; COMPUTE_PGM_RSRC2:TIDIG_COMP_CNT: 1
	.section	.text._ZN4vllm3moe17topkGatingSoftmaxILi2ELi2ELi4ELi8ELi64ElEEvPKfPKbPfiPT4_Piiii,"axG",@progbits,_ZN4vllm3moe17topkGatingSoftmaxILi2ELi2ELi4ELi8ELi64ElEEvPKfPKbPfiPT4_Piiii,comdat
	.protected	_ZN4vllm3moe17topkGatingSoftmaxILi2ELi2ELi4ELi8ELi64ElEEvPKfPKbPfiPT4_Piiii ; -- Begin function _ZN4vllm3moe17topkGatingSoftmaxILi2ELi2ELi4ELi8ELi64ElEEvPKfPKbPfiPT4_Piiii
	.globl	_ZN4vllm3moe17topkGatingSoftmaxILi2ELi2ELi4ELi8ELi64ElEEvPKfPKbPfiPT4_Piiii
	.p2align	8
	.type	_ZN4vllm3moe17topkGatingSoftmaxILi2ELi2ELi4ELi8ELi64ElEEvPKfPKbPfiPT4_Piiii,@function
_ZN4vllm3moe17topkGatingSoftmaxILi2ELi2ELi4ELi8ELi64ElEEvPKfPKbPfiPT4_Piiii: ; @_ZN4vllm3moe17topkGatingSoftmaxILi2ELi2ELi4ELi8ELi64ElEEvPKfPKbPfiPT4_Piiii
; %bb.0:
	s_load_b32 s2, s[0:1], 0x18
	v_bfe_u32 v1, v0, 10, 10
	v_and_b32_e32 v0, 0x3ff, v0
	s_lshl_b32 s3, s15, 8
	s_delay_alu instid0(VALU_DEP_2) | instskip(NEXT) | instid1(VALU_DEP_1)
	v_lshlrev_b32_e32 v1, 6, v1
	v_add3_u32 v6, v1, v0, s3
	s_mov_b32 s3, exec_lo
	s_waitcnt lgkmcnt(0)
	s_delay_alu instid0(VALU_DEP_1)
	v_cmpx_gt_i32_e64 s2, v6
	s_cbranch_execz .LBB47_6
; %bb.1:
	s_load_b128 s[8:11], s[0:1], 0x0
	s_waitcnt lgkmcnt(0)
	s_cmp_eq_u64 s[10:11], 0
	s_cbranch_scc1 .LBB47_3
; %bb.2:
	v_ashrrev_i32_e32 v1, 31, v6
	v_add_co_u32 v0, vcc_lo, s10, v6
	s_delay_alu instid0(VALU_DEP_2) | instskip(SKIP_3) | instid1(VALU_DEP_1)
	v_add_co_ci_u32_e32 v1, vcc_lo, s11, v1, vcc_lo
	global_load_u8 v0, v[0:1], off
	s_waitcnt vmcnt(0)
	v_and_b32_e32 v0, 1, v0
	v_cmp_eq_u32_e32 vcc_lo, 1, v0
	s_xor_b32 s3, vcc_lo, -1
	s_delay_alu instid0(SALU_CYCLE_1)
	s_or_not1_b32 s3, s3, exec_lo
	s_load_b128 s[4:7], s[0:1], 0x30
	s_waitcnt lgkmcnt(0)
	s_cmp_lt_i32 s4, 1
	s_cbranch_scc0 .LBB47_4
	s_branch .LBB47_6
.LBB47_3:
	s_mov_b32 s3, -1
	s_load_b128 s[4:7], s[0:1], 0x30
	s_waitcnt lgkmcnt(0)
	s_cmp_lt_i32 s4, 1
	s_cbranch_scc1 .LBB47_6
.LBB47_4:
	v_lshlrev_b32_e32 v0, 1, v6
	s_load_b64 s[12:13], s[0:1], 0x10
	s_delay_alu instid0(VALU_DEP_1) | instskip(NEXT) | instid1(VALU_DEP_1)
	v_ashrrev_i32_e32 v1, 31, v0
	v_lshlrev_b64 v[0:1], 2, v[0:1]
	s_delay_alu instid0(VALU_DEP_1) | instskip(NEXT) | instid1(VALU_DEP_2)
	v_add_co_u32 v0, vcc_lo, s8, v0
	v_add_co_ci_u32_e32 v1, vcc_lo, s9, v1, vcc_lo
	s_load_b128 s[8:11], s[0:1], 0x20
	s_mov_b32 s1, 0
	global_load_b64 v[0:1], v[0:1], off
	s_waitcnt vmcnt(0)
	v_dual_max_f32 v2, v1, v1 :: v_dual_max_f32 v3, v0, v0
	s_delay_alu instid0(VALU_DEP_1) | instskip(NEXT) | instid1(VALU_DEP_1)
	v_max_f32_e32 v2, v3, v2
	v_sub_f32_e32 v1, v1, v2
	s_delay_alu instid0(VALU_DEP_1) | instskip(NEXT) | instid1(VALU_DEP_1)
	v_mul_f32_e32 v3, 0x3fb8aa3b, v1
	v_fma_f32 v7, 0x3fb8aa3b, v1, -v3
	v_rndne_f32_e32 v8, v3
	s_delay_alu instid0(VALU_DEP_2) | instskip(NEXT) | instid1(VALU_DEP_2)
	v_dual_fmac_f32 v7, 0x32a5705f, v1 :: v_dual_sub_f32 v0, v0, v2
	v_sub_f32_e32 v3, v3, v8
	s_delay_alu instid0(VALU_DEP_2) | instskip(SKIP_1) | instid1(VALU_DEP_3)
	v_mul_f32_e32 v2, 0x3fb8aa3b, v0
	v_cmp_ngt_f32_e32 vcc_lo, 0xc2ce8ed0, v0
	v_add_f32_e32 v3, v3, v7
	s_delay_alu instid0(VALU_DEP_3) | instskip(SKIP_1) | instid1(VALU_DEP_3)
	v_fma_f32 v4, 0x3fb8aa3b, v0, -v2
	v_rndne_f32_e32 v5, v2
	v_exp_f32_e32 v3, v3
	s_delay_alu instid0(VALU_DEP_2) | instskip(NEXT) | instid1(VALU_DEP_2)
	v_fmac_f32_e32 v4, 0x32a5705f, v0
	v_sub_f32_e32 v2, v2, v5
	s_delay_alu instid0(VALU_DEP_1) | instskip(SKIP_2) | instid1(VALU_DEP_3)
	v_add_f32_e32 v2, v2, v4
	v_cvt_i32_f32_e32 v4, v5
	v_cvt_i32_f32_e32 v5, v8
	v_exp_f32_e32 v2, v2
	s_delay_alu instid0(TRANS32_DEP_2) | instid1(VALU_DEP_1)
	v_ldexp_f32 v3, v3, v5
	s_waitcnt_depctr 0xfff
	v_ldexp_f32 v2, v2, v4
	s_delay_alu instid0(VALU_DEP_1) | instskip(SKIP_3) | instid1(VALU_DEP_4)
	v_cndmask_b32_e32 v2, 0, v2, vcc_lo
	v_cmp_ngt_f32_e32 vcc_lo, 0xc2ce8ed0, v1
	v_cndmask_b32_e32 v3, 0, v3, vcc_lo
	v_cmp_nlt_f32_e32 vcc_lo, 0x42b17218, v0
	v_cndmask_b32_e32 v8, 0x7f800000, v2, vcc_lo
	v_cmp_nlt_f32_e32 vcc_lo, 0x42b17218, v1
	s_delay_alu instid0(VALU_DEP_4) | instskip(NEXT) | instid1(VALU_DEP_1)
	v_cndmask_b32_e32 v7, 0x7f800000, v3, vcc_lo
	v_add_f32_e32 v9, v8, v7
	s_delay_alu instid0(VALU_DEP_1) | instskip(SKIP_1) | instid1(VALU_DEP_2)
	v_div_scale_f32 v2, null, v9, v9, 1.0
	v_div_scale_f32 v3, vcc_lo, 1.0, v9, 1.0
	v_rcp_f32_e32 v10, v2
	s_waitcnt_depctr 0xfff
	v_fma_f32 v0, -v2, v10, 1.0
	s_delay_alu instid0(VALU_DEP_1) | instskip(SKIP_1) | instid1(VALU_DEP_2)
	v_fmac_f32_e32 v10, v0, v10
	v_mul_lo_u32 v0, v6, s4
	v_mul_f32_e32 v11, v3, v10
	s_delay_alu instid0(VALU_DEP_1) | instskip(NEXT) | instid1(VALU_DEP_1)
	v_fma_f32 v1, -v2, v11, v3
	v_fmac_f32_e32 v11, v1, v10
	s_delay_alu instid0(VALU_DEP_4) | instskip(NEXT) | instid1(VALU_DEP_2)
	v_ashrrev_i32_e32 v1, 31, v0
	v_fma_f32 v12, -v2, v11, v3
	s_delay_alu instid0(VALU_DEP_2) | instskip(SKIP_1) | instid1(VALU_DEP_3)
	v_lshlrev_b64 v[4:5], 2, v[0:1]
	v_lshlrev_b64 v[2:3], 3, v[0:1]
	v_div_fmas_f32 v10, v12, v10, v11
	s_waitcnt lgkmcnt(0)
	s_delay_alu instid0(VALU_DEP_3) | instskip(NEXT) | instid1(VALU_DEP_4)
	v_add_co_u32 v0, vcc_lo, s12, v4
	v_add_co_ci_u32_e32 v1, vcc_lo, s13, v5, vcc_lo
	s_delay_alu instid0(VALU_DEP_3) | instskip(SKIP_3) | instid1(VALU_DEP_4)
	v_div_fixup_f32 v9, v10, v9, 1.0
	v_add_co_u32 v2, vcc_lo, s8, v2
	v_add_co_ci_u32_e32 v3, vcc_lo, s9, v3, vcc_lo
	v_add_co_u32 v4, vcc_lo, s10, v4
	v_mul_f32_e32 v7, v9, v7
	v_mul_f32_e32 v8, v9, v8
	v_add_co_ci_u32_e32 v5, vcc_lo, s11, v5, vcc_lo
	s_set_inst_prefetch_distance 0x1
	.p2align	6
.LBB47_5:                               ; =>This Inner Loop Header: Depth=1
	s_delay_alu instid0(VALU_DEP_2) | instskip(SKIP_2) | instid1(VALU_DEP_1)
	v_cmp_gt_f32_e32 vcc_lo, v7, v8
	global_store_b32 v[4:5], v6, off
	v_add_co_u32 v4, s0, v4, 4
	v_add_co_ci_u32_e64 v5, s0, 0, v5, s0
	v_dual_cndmask_b32 v9, v8, v7 :: v_dual_add_nc_u32 v6, s2, v6
	v_cndmask_b32_e64 v10, 0, 1, vcc_lo
	v_cndmask_b32_e64 v11, v7, 0xc61c4000, vcc_lo
	v_cndmask_b32_e32 v12, 0xc61c4000, v8, vcc_lo
	global_store_b32 v[0:1], v9, off
	v_add_co_u32 v0, vcc_lo, v0, 4
	v_add_co_ci_u32_e32 v1, vcc_lo, 0, v1, vcc_lo
	v_subrev_nc_u32_e32 v9, s5, v10
	v_cmp_le_i32_e32 vcc_lo, s5, v10
	v_cmp_gt_i32_e64 s0, s6, v10
	s_add_i32 s1, s1, 1
	s_delay_alu instid0(VALU_DEP_3) | instskip(NEXT) | instid1(VALU_DEP_2)
	v_ashrrev_i32_e32 v10, 31, v9
	s_and_b32 s0, vcc_lo, s0
	s_delay_alu instid0(SALU_CYCLE_1) | instskip(SKIP_1) | instid1(VALU_DEP_1)
	s_and_b32 vcc_lo, s3, s0
	s_cmp_lt_i32 s1, s4
	v_dual_cndmask_b32 v10, 0, v10 :: v_dual_cndmask_b32 v9, 2, v9
	s_cselect_b32 vcc_lo, -1, 0
	s_cmp_lg_u32 s4, s1
	v_dual_cndmask_b32 v8, v8, v12 :: v_dual_cndmask_b32 v7, v7, v11
	global_store_b64 v[2:3], v[9:10], off
	v_add_co_u32 v2, vcc_lo, v2, 8
	v_add_co_ci_u32_e32 v3, vcc_lo, 0, v3, vcc_lo
	s_cbranch_scc1 .LBB47_5
.LBB47_6:
	s_set_inst_prefetch_distance 0x2
	s_nop 0
	s_sendmsg sendmsg(MSG_DEALLOC_VGPRS)
	s_endpgm
	.section	.rodata,"a",@progbits
	.p2align	6, 0x0
	.amdhsa_kernel _ZN4vllm3moe17topkGatingSoftmaxILi2ELi2ELi4ELi8ELi64ElEEvPKfPKbPfiPT4_Piiii
		.amdhsa_group_segment_fixed_size 0
		.amdhsa_private_segment_fixed_size 0
		.amdhsa_kernarg_size 60
		.amdhsa_user_sgpr_count 15
		.amdhsa_user_sgpr_dispatch_ptr 0
		.amdhsa_user_sgpr_queue_ptr 0
		.amdhsa_user_sgpr_kernarg_segment_ptr 1
		.amdhsa_user_sgpr_dispatch_id 0
		.amdhsa_user_sgpr_private_segment_size 0
		.amdhsa_wavefront_size32 1
		.amdhsa_uses_dynamic_stack 0
		.amdhsa_enable_private_segment 0
		.amdhsa_system_sgpr_workgroup_id_x 1
		.amdhsa_system_sgpr_workgroup_id_y 0
		.amdhsa_system_sgpr_workgroup_id_z 0
		.amdhsa_system_sgpr_workgroup_info 0
		.amdhsa_system_vgpr_workitem_id 1
		.amdhsa_next_free_vgpr 13
		.amdhsa_next_free_sgpr 16
		.amdhsa_reserve_vcc 1
		.amdhsa_float_round_mode_32 0
		.amdhsa_float_round_mode_16_64 0
		.amdhsa_float_denorm_mode_32 3
		.amdhsa_float_denorm_mode_16_64 3
		.amdhsa_dx10_clamp 1
		.amdhsa_ieee_mode 1
		.amdhsa_fp16_overflow 0
		.amdhsa_workgroup_processor_mode 1
		.amdhsa_memory_ordered 1
		.amdhsa_forward_progress 0
		.amdhsa_shared_vgpr_count 0
		.amdhsa_exception_fp_ieee_invalid_op 0
		.amdhsa_exception_fp_denorm_src 0
		.amdhsa_exception_fp_ieee_div_zero 0
		.amdhsa_exception_fp_ieee_overflow 0
		.amdhsa_exception_fp_ieee_underflow 0
		.amdhsa_exception_fp_ieee_inexact 0
		.amdhsa_exception_int_div_zero 0
	.end_amdhsa_kernel
	.section	.text._ZN4vllm3moe17topkGatingSoftmaxILi2ELi2ELi4ELi8ELi64ElEEvPKfPKbPfiPT4_Piiii,"axG",@progbits,_ZN4vllm3moe17topkGatingSoftmaxILi2ELi2ELi4ELi8ELi64ElEEvPKfPKbPfiPT4_Piiii,comdat
.Lfunc_end47:
	.size	_ZN4vllm3moe17topkGatingSoftmaxILi2ELi2ELi4ELi8ELi64ElEEvPKfPKbPfiPT4_Piiii, .Lfunc_end47-_ZN4vllm3moe17topkGatingSoftmaxILi2ELi2ELi4ELi8ELi64ElEEvPKfPKbPfiPT4_Piiii
                                        ; -- End function
	.section	.AMDGPU.csdata,"",@progbits
; Kernel info:
; codeLenInByte = 872
; NumSgprs: 18
; NumVgprs: 13
; ScratchSize: 0
; MemoryBound: 0
; FloatMode: 240
; IeeeMode: 1
; LDSByteSize: 0 bytes/workgroup (compile time only)
; SGPRBlocks: 2
; VGPRBlocks: 1
; NumSGPRsForWavesPerEU: 18
; NumVGPRsForWavesPerEU: 13
; Occupancy: 16
; WaveLimiterHint : 0
; COMPUTE_PGM_RSRC2:SCRATCH_EN: 0
; COMPUTE_PGM_RSRC2:USER_SGPR: 15
; COMPUTE_PGM_RSRC2:TRAP_HANDLER: 0
; COMPUTE_PGM_RSRC2:TGID_X_EN: 1
; COMPUTE_PGM_RSRC2:TGID_Y_EN: 0
; COMPUTE_PGM_RSRC2:TGID_Z_EN: 0
; COMPUTE_PGM_RSRC2:TIDIG_COMP_CNT: 1
	.section	.text._ZN4vllm3moe17topkGatingSoftmaxILi2ELi2ELi4ELi8ELi32ElEEvPKfPKbPfiPT4_Piiii,"axG",@progbits,_ZN4vllm3moe17topkGatingSoftmaxILi2ELi2ELi4ELi8ELi32ElEEvPKfPKbPfiPT4_Piiii,comdat
	.protected	_ZN4vllm3moe17topkGatingSoftmaxILi2ELi2ELi4ELi8ELi32ElEEvPKfPKbPfiPT4_Piiii ; -- Begin function _ZN4vllm3moe17topkGatingSoftmaxILi2ELi2ELi4ELi8ELi32ElEEvPKfPKbPfiPT4_Piiii
	.globl	_ZN4vllm3moe17topkGatingSoftmaxILi2ELi2ELi4ELi8ELi32ElEEvPKfPKbPfiPT4_Piiii
	.p2align	8
	.type	_ZN4vllm3moe17topkGatingSoftmaxILi2ELi2ELi4ELi8ELi32ElEEvPKfPKbPfiPT4_Piiii,@function
_ZN4vllm3moe17topkGatingSoftmaxILi2ELi2ELi4ELi8ELi32ElEEvPKfPKbPfiPT4_Piiii: ; @_ZN4vllm3moe17topkGatingSoftmaxILi2ELi2ELi4ELi8ELi32ElEEvPKfPKbPfiPT4_Piiii
; %bb.0:
	s_load_b32 s2, s[0:1], 0x18
	v_bfe_u32 v1, v0, 10, 10
	v_and_b32_e32 v0, 0x3ff, v0
	s_lshl_b32 s3, s15, 7
	s_delay_alu instid0(VALU_DEP_2) | instskip(NEXT) | instid1(VALU_DEP_1)
	v_lshlrev_b32_e32 v1, 5, v1
	v_add3_u32 v6, v1, v0, s3
	s_mov_b32 s3, exec_lo
	s_waitcnt lgkmcnt(0)
	s_delay_alu instid0(VALU_DEP_1)
	v_cmpx_gt_i32_e64 s2, v6
	s_cbranch_execz .LBB48_6
; %bb.1:
	s_load_b128 s[8:11], s[0:1], 0x0
	s_waitcnt lgkmcnt(0)
	s_cmp_eq_u64 s[10:11], 0
	s_cbranch_scc1 .LBB48_3
; %bb.2:
	v_ashrrev_i32_e32 v1, 31, v6
	v_add_co_u32 v0, vcc_lo, s10, v6
	s_delay_alu instid0(VALU_DEP_2) | instskip(SKIP_3) | instid1(VALU_DEP_1)
	v_add_co_ci_u32_e32 v1, vcc_lo, s11, v1, vcc_lo
	global_load_u8 v0, v[0:1], off
	s_waitcnt vmcnt(0)
	v_and_b32_e32 v0, 1, v0
	v_cmp_eq_u32_e32 vcc_lo, 1, v0
	s_xor_b32 s3, vcc_lo, -1
	s_delay_alu instid0(SALU_CYCLE_1)
	s_or_not1_b32 s3, s3, exec_lo
	s_load_b128 s[4:7], s[0:1], 0x30
	s_waitcnt lgkmcnt(0)
	s_cmp_lt_i32 s4, 1
	s_cbranch_scc0 .LBB48_4
	s_branch .LBB48_6
.LBB48_3:
	s_mov_b32 s3, -1
	s_load_b128 s[4:7], s[0:1], 0x30
	s_waitcnt lgkmcnt(0)
	s_cmp_lt_i32 s4, 1
	s_cbranch_scc1 .LBB48_6
.LBB48_4:
	v_lshlrev_b32_e32 v0, 1, v6
	s_load_b64 s[12:13], s[0:1], 0x10
	s_delay_alu instid0(VALU_DEP_1) | instskip(NEXT) | instid1(VALU_DEP_1)
	v_ashrrev_i32_e32 v1, 31, v0
	v_lshlrev_b64 v[0:1], 2, v[0:1]
	s_delay_alu instid0(VALU_DEP_1) | instskip(NEXT) | instid1(VALU_DEP_2)
	v_add_co_u32 v0, vcc_lo, s8, v0
	v_add_co_ci_u32_e32 v1, vcc_lo, s9, v1, vcc_lo
	s_load_b128 s[8:11], s[0:1], 0x20
	s_mov_b32 s1, 0
	global_load_b64 v[0:1], v[0:1], off
	s_waitcnt vmcnt(0)
	v_dual_max_f32 v2, v1, v1 :: v_dual_max_f32 v3, v0, v0
	s_delay_alu instid0(VALU_DEP_1) | instskip(NEXT) | instid1(VALU_DEP_1)
	v_max_f32_e32 v2, v3, v2
	v_sub_f32_e32 v1, v1, v2
	s_delay_alu instid0(VALU_DEP_1) | instskip(NEXT) | instid1(VALU_DEP_1)
	v_mul_f32_e32 v3, 0x3fb8aa3b, v1
	v_fma_f32 v7, 0x3fb8aa3b, v1, -v3
	v_rndne_f32_e32 v8, v3
	s_delay_alu instid0(VALU_DEP_2) | instskip(NEXT) | instid1(VALU_DEP_2)
	v_dual_fmac_f32 v7, 0x32a5705f, v1 :: v_dual_sub_f32 v0, v0, v2
	v_sub_f32_e32 v3, v3, v8
	s_delay_alu instid0(VALU_DEP_2) | instskip(SKIP_1) | instid1(VALU_DEP_3)
	v_mul_f32_e32 v2, 0x3fb8aa3b, v0
	v_cmp_ngt_f32_e32 vcc_lo, 0xc2ce8ed0, v0
	v_add_f32_e32 v3, v3, v7
	s_delay_alu instid0(VALU_DEP_3) | instskip(SKIP_1) | instid1(VALU_DEP_3)
	v_fma_f32 v4, 0x3fb8aa3b, v0, -v2
	v_rndne_f32_e32 v5, v2
	v_exp_f32_e32 v3, v3
	s_delay_alu instid0(VALU_DEP_2) | instskip(NEXT) | instid1(VALU_DEP_2)
	v_fmac_f32_e32 v4, 0x32a5705f, v0
	v_sub_f32_e32 v2, v2, v5
	s_delay_alu instid0(VALU_DEP_1) | instskip(SKIP_2) | instid1(VALU_DEP_3)
	v_add_f32_e32 v2, v2, v4
	v_cvt_i32_f32_e32 v4, v5
	v_cvt_i32_f32_e32 v5, v8
	v_exp_f32_e32 v2, v2
	s_delay_alu instid0(TRANS32_DEP_2) | instid1(VALU_DEP_1)
	v_ldexp_f32 v3, v3, v5
	s_waitcnt_depctr 0xfff
	v_ldexp_f32 v2, v2, v4
	s_delay_alu instid0(VALU_DEP_1) | instskip(SKIP_3) | instid1(VALU_DEP_4)
	v_cndmask_b32_e32 v2, 0, v2, vcc_lo
	v_cmp_ngt_f32_e32 vcc_lo, 0xc2ce8ed0, v1
	v_cndmask_b32_e32 v3, 0, v3, vcc_lo
	v_cmp_nlt_f32_e32 vcc_lo, 0x42b17218, v0
	v_cndmask_b32_e32 v8, 0x7f800000, v2, vcc_lo
	v_cmp_nlt_f32_e32 vcc_lo, 0x42b17218, v1
	s_delay_alu instid0(VALU_DEP_4) | instskip(NEXT) | instid1(VALU_DEP_1)
	v_cndmask_b32_e32 v7, 0x7f800000, v3, vcc_lo
	v_add_f32_e32 v9, v8, v7
	s_delay_alu instid0(VALU_DEP_1) | instskip(SKIP_1) | instid1(VALU_DEP_2)
	v_div_scale_f32 v2, null, v9, v9, 1.0
	v_div_scale_f32 v3, vcc_lo, 1.0, v9, 1.0
	v_rcp_f32_e32 v10, v2
	s_waitcnt_depctr 0xfff
	v_fma_f32 v0, -v2, v10, 1.0
	s_delay_alu instid0(VALU_DEP_1) | instskip(SKIP_1) | instid1(VALU_DEP_2)
	v_fmac_f32_e32 v10, v0, v10
	v_mul_lo_u32 v0, v6, s4
	v_mul_f32_e32 v11, v3, v10
	s_delay_alu instid0(VALU_DEP_1) | instskip(NEXT) | instid1(VALU_DEP_1)
	v_fma_f32 v1, -v2, v11, v3
	v_fmac_f32_e32 v11, v1, v10
	s_delay_alu instid0(VALU_DEP_4) | instskip(NEXT) | instid1(VALU_DEP_2)
	v_ashrrev_i32_e32 v1, 31, v0
	v_fma_f32 v12, -v2, v11, v3
	s_delay_alu instid0(VALU_DEP_2) | instskip(SKIP_1) | instid1(VALU_DEP_3)
	v_lshlrev_b64 v[4:5], 2, v[0:1]
	v_lshlrev_b64 v[2:3], 3, v[0:1]
	v_div_fmas_f32 v10, v12, v10, v11
	s_waitcnt lgkmcnt(0)
	s_delay_alu instid0(VALU_DEP_3) | instskip(NEXT) | instid1(VALU_DEP_4)
	v_add_co_u32 v0, vcc_lo, s12, v4
	v_add_co_ci_u32_e32 v1, vcc_lo, s13, v5, vcc_lo
	s_delay_alu instid0(VALU_DEP_3) | instskip(SKIP_3) | instid1(VALU_DEP_4)
	v_div_fixup_f32 v9, v10, v9, 1.0
	v_add_co_u32 v2, vcc_lo, s8, v2
	v_add_co_ci_u32_e32 v3, vcc_lo, s9, v3, vcc_lo
	v_add_co_u32 v4, vcc_lo, s10, v4
	v_mul_f32_e32 v7, v9, v7
	v_mul_f32_e32 v8, v9, v8
	v_add_co_ci_u32_e32 v5, vcc_lo, s11, v5, vcc_lo
	s_set_inst_prefetch_distance 0x1
	.p2align	6
.LBB48_5:                               ; =>This Inner Loop Header: Depth=1
	s_delay_alu instid0(VALU_DEP_2) | instskip(SKIP_2) | instid1(VALU_DEP_1)
	v_cmp_gt_f32_e32 vcc_lo, v7, v8
	global_store_b32 v[4:5], v6, off
	v_add_co_u32 v4, s0, v4, 4
	v_add_co_ci_u32_e64 v5, s0, 0, v5, s0
	v_dual_cndmask_b32 v9, v8, v7 :: v_dual_add_nc_u32 v6, s2, v6
	v_cndmask_b32_e64 v10, 0, 1, vcc_lo
	v_cndmask_b32_e64 v11, v7, 0xc61c4000, vcc_lo
	v_cndmask_b32_e32 v12, 0xc61c4000, v8, vcc_lo
	global_store_b32 v[0:1], v9, off
	v_add_co_u32 v0, vcc_lo, v0, 4
	v_add_co_ci_u32_e32 v1, vcc_lo, 0, v1, vcc_lo
	v_subrev_nc_u32_e32 v9, s5, v10
	v_cmp_le_i32_e32 vcc_lo, s5, v10
	v_cmp_gt_i32_e64 s0, s6, v10
	s_add_i32 s1, s1, 1
	s_delay_alu instid0(VALU_DEP_3) | instskip(NEXT) | instid1(VALU_DEP_2)
	v_ashrrev_i32_e32 v10, 31, v9
	s_and_b32 s0, vcc_lo, s0
	s_delay_alu instid0(SALU_CYCLE_1) | instskip(SKIP_1) | instid1(VALU_DEP_1)
	s_and_b32 vcc_lo, s3, s0
	s_cmp_lt_i32 s1, s4
	v_dual_cndmask_b32 v10, 0, v10 :: v_dual_cndmask_b32 v9, 2, v9
	s_cselect_b32 vcc_lo, -1, 0
	s_cmp_lg_u32 s4, s1
	v_dual_cndmask_b32 v8, v8, v12 :: v_dual_cndmask_b32 v7, v7, v11
	global_store_b64 v[2:3], v[9:10], off
	v_add_co_u32 v2, vcc_lo, v2, 8
	v_add_co_ci_u32_e32 v3, vcc_lo, 0, v3, vcc_lo
	s_cbranch_scc1 .LBB48_5
.LBB48_6:
	s_set_inst_prefetch_distance 0x2
	s_nop 0
	s_sendmsg sendmsg(MSG_DEALLOC_VGPRS)
	s_endpgm
	.section	.rodata,"a",@progbits
	.p2align	6, 0x0
	.amdhsa_kernel _ZN4vllm3moe17topkGatingSoftmaxILi2ELi2ELi4ELi8ELi32ElEEvPKfPKbPfiPT4_Piiii
		.amdhsa_group_segment_fixed_size 0
		.amdhsa_private_segment_fixed_size 0
		.amdhsa_kernarg_size 60
		.amdhsa_user_sgpr_count 15
		.amdhsa_user_sgpr_dispatch_ptr 0
		.amdhsa_user_sgpr_queue_ptr 0
		.amdhsa_user_sgpr_kernarg_segment_ptr 1
		.amdhsa_user_sgpr_dispatch_id 0
		.amdhsa_user_sgpr_private_segment_size 0
		.amdhsa_wavefront_size32 1
		.amdhsa_uses_dynamic_stack 0
		.amdhsa_enable_private_segment 0
		.amdhsa_system_sgpr_workgroup_id_x 1
		.amdhsa_system_sgpr_workgroup_id_y 0
		.amdhsa_system_sgpr_workgroup_id_z 0
		.amdhsa_system_sgpr_workgroup_info 0
		.amdhsa_system_vgpr_workitem_id 1
		.amdhsa_next_free_vgpr 13
		.amdhsa_next_free_sgpr 16
		.amdhsa_reserve_vcc 1
		.amdhsa_float_round_mode_32 0
		.amdhsa_float_round_mode_16_64 0
		.amdhsa_float_denorm_mode_32 3
		.amdhsa_float_denorm_mode_16_64 3
		.amdhsa_dx10_clamp 1
		.amdhsa_ieee_mode 1
		.amdhsa_fp16_overflow 0
		.amdhsa_workgroup_processor_mode 1
		.amdhsa_memory_ordered 1
		.amdhsa_forward_progress 0
		.amdhsa_shared_vgpr_count 0
		.amdhsa_exception_fp_ieee_invalid_op 0
		.amdhsa_exception_fp_denorm_src 0
		.amdhsa_exception_fp_ieee_div_zero 0
		.amdhsa_exception_fp_ieee_overflow 0
		.amdhsa_exception_fp_ieee_underflow 0
		.amdhsa_exception_fp_ieee_inexact 0
		.amdhsa_exception_int_div_zero 0
	.end_amdhsa_kernel
	.section	.text._ZN4vllm3moe17topkGatingSoftmaxILi2ELi2ELi4ELi8ELi32ElEEvPKfPKbPfiPT4_Piiii,"axG",@progbits,_ZN4vllm3moe17topkGatingSoftmaxILi2ELi2ELi4ELi8ELi32ElEEvPKfPKbPfiPT4_Piiii,comdat
.Lfunc_end48:
	.size	_ZN4vllm3moe17topkGatingSoftmaxILi2ELi2ELi4ELi8ELi32ElEEvPKfPKbPfiPT4_Piiii, .Lfunc_end48-_ZN4vllm3moe17topkGatingSoftmaxILi2ELi2ELi4ELi8ELi32ElEEvPKfPKbPfiPT4_Piiii
                                        ; -- End function
	.section	.AMDGPU.csdata,"",@progbits
; Kernel info:
; codeLenInByte = 872
; NumSgprs: 18
; NumVgprs: 13
; ScratchSize: 0
; MemoryBound: 0
; FloatMode: 240
; IeeeMode: 1
; LDSByteSize: 0 bytes/workgroup (compile time only)
; SGPRBlocks: 2
; VGPRBlocks: 1
; NumSGPRsForWavesPerEU: 18
; NumVGPRsForWavesPerEU: 13
; Occupancy: 16
; WaveLimiterHint : 0
; COMPUTE_PGM_RSRC2:SCRATCH_EN: 0
; COMPUTE_PGM_RSRC2:USER_SGPR: 15
; COMPUTE_PGM_RSRC2:TRAP_HANDLER: 0
; COMPUTE_PGM_RSRC2:TGID_X_EN: 1
; COMPUTE_PGM_RSRC2:TGID_Y_EN: 0
; COMPUTE_PGM_RSRC2:TGID_Z_EN: 0
; COMPUTE_PGM_RSRC2:TIDIG_COMP_CNT: 1
	.section	.text._ZN4vllm3moe17topkGatingSoftmaxILi4ELi4ELi4ELi16ELi64ElEEvPKfPKbPfiPT4_Piiii,"axG",@progbits,_ZN4vllm3moe17topkGatingSoftmaxILi4ELi4ELi4ELi16ELi64ElEEvPKfPKbPfiPT4_Piiii,comdat
	.protected	_ZN4vllm3moe17topkGatingSoftmaxILi4ELi4ELi4ELi16ELi64ElEEvPKfPKbPfiPT4_Piiii ; -- Begin function _ZN4vllm3moe17topkGatingSoftmaxILi4ELi4ELi4ELi16ELi64ElEEvPKfPKbPfiPT4_Piiii
	.globl	_ZN4vllm3moe17topkGatingSoftmaxILi4ELi4ELi4ELi16ELi64ElEEvPKfPKbPfiPT4_Piiii
	.p2align	8
	.type	_ZN4vllm3moe17topkGatingSoftmaxILi4ELi4ELi4ELi16ELi64ElEEvPKfPKbPfiPT4_Piiii,@function
_ZN4vllm3moe17topkGatingSoftmaxILi4ELi4ELi4ELi16ELi64ElEEvPKfPKbPfiPT4_Piiii: ; @_ZN4vllm3moe17topkGatingSoftmaxILi4ELi4ELi4ELi16ELi64ElEEvPKfPKbPfiPT4_Piiii
; %bb.0:
	s_load_b32 s10, s[2:3], 0x18
	v_bfe_u32 v1, v0, 10, 10
	v_and_b32_e32 v2, 0x3ff, v0
	s_lshl_b32 s4, s15, 8
	s_delay_alu instid0(VALU_DEP_2) | instskip(NEXT) | instid1(VALU_DEP_1)
	v_lshlrev_b32_e32 v3, 6, v1
	v_add3_u32 v6, v3, v2, s4
	s_mov_b32 s4, exec_lo
	s_waitcnt lgkmcnt(0)
	s_delay_alu instid0(VALU_DEP_1)
	v_cmpx_gt_i32_e64 s10, v6
	s_cbranch_execz .LBB49_9
; %bb.1:
	s_clause 0x1
	s_load_b128 s[4:7], s[2:3], 0x0
	s_load_b64 s[8:9], s[2:3], 0x10
	s_waitcnt lgkmcnt(0)
	s_cmp_eq_u64 s[6:7], 0
	s_cbranch_scc1 .LBB49_3
; %bb.2:
	v_ashrrev_i32_e32 v4, 31, v6
	v_add_co_u32 v3, vcc_lo, s6, v6
	s_delay_alu instid0(VALU_DEP_2) | instskip(SKIP_3) | instid1(VALU_DEP_1)
	v_add_co_ci_u32_e32 v4, vcc_lo, s7, v4, vcc_lo
	global_load_u8 v3, v[3:4], off
	s_waitcnt vmcnt(0)
	v_and_b32_e32 v3, 1, v3
	v_cmp_eq_u32_e32 vcc_lo, 1, v3
	s_xor_b32 s6, vcc_lo, -1
	s_delay_alu instid0(SALU_CYCLE_1)
	s_or_not1_b32 s11, s6, exec_lo
	s_branch .LBB49_4
.LBB49_3:
	s_mov_b32 s11, -1
.LBB49_4:
	v_lshlrev_b32_e32 v3, 2, v6
	s_load_b64 s[0:1], s[0:1], 0x4
	v_bfe_u32 v0, v0, 20, 10
	s_delay_alu instid0(VALU_DEP_2) | instskip(NEXT) | instid1(VALU_DEP_1)
	v_ashrrev_i32_e32 v4, 31, v3
	v_lshlrev_b64 v[3:4], 2, v[3:4]
	s_delay_alu instid0(VALU_DEP_1) | instskip(NEXT) | instid1(VALU_DEP_2)
	v_add_co_u32 v3, vcc_lo, s4, v3
	v_add_co_ci_u32_e32 v4, vcc_lo, s5, v4, vcc_lo
	s_load_b128 s[4:7], s[2:3], 0x30
	s_waitcnt lgkmcnt(0)
	s_lshr_b32 s0, s0, 16
	s_delay_alu instid0(SALU_CYCLE_1) | instskip(SKIP_2) | instid1(VALU_DEP_1)
	s_mul_i32 s0, s0, s1
	global_load_b128 v[7:10], v[3:4], off
	v_mul_lo_u32 v2, s0, v2
	v_mad_u32_u24 v1, v1, s1, v2
	s_mov_b32 s1, 0
	s_cmp_lt_i32 s4, 1
	s_waitcnt vmcnt(0)
	v_dual_max_f32 v4, v7, v7 :: v_dual_max_f32 v3, v8, v8
	s_delay_alu instid0(VALU_DEP_1) | instskip(NEXT) | instid1(VALU_DEP_1)
	v_max_f32_e32 v3, v4, v3
	v_max3_f32 v3, v3, v9, v10
	s_delay_alu instid0(VALU_DEP_1) | instskip(SKIP_2) | instid1(VALU_DEP_2)
	v_sub_f32_e32 v5, v8, v3
	v_sub_f32_e32 v4, v7, v3
	;; [unrolled: 1-line block ×3, first 2 shown]
	v_dual_mul_f32 v9, 0x3fb8aa3b, v5 :: v_dual_mul_f32 v8, 0x3fb8aa3b, v4
	v_cmp_ngt_f32_e32 vcc_lo, 0xc2ce8ed0, v4
	s_delay_alu instid0(VALU_DEP_2) | instskip(NEXT) | instid1(VALU_DEP_3)
	v_rndne_f32_e32 v15, v9
	v_fma_f32 v12, 0x3fb8aa3b, v4, -v8
	v_rndne_f32_e32 v13, v8
	s_delay_alu instid0(VALU_DEP_2) | instskip(NEXT) | instid1(VALU_DEP_2)
	v_fmac_f32_e32 v12, 0x32a5705f, v4
	v_sub_f32_e32 v8, v8, v13
	v_fma_f32 v14, 0x3fb8aa3b, v5, -v9
	v_sub_f32_e32 v3, v10, v3
	v_mul_f32_e32 v10, 0x3fb8aa3b, v7
	s_delay_alu instid0(VALU_DEP_4) | instskip(NEXT) | instid1(VALU_DEP_4)
	v_dual_sub_f32 v9, v9, v15 :: v_dual_add_f32 v8, v8, v12
	v_fmac_f32_e32 v14, 0x32a5705f, v5
	v_cvt_i32_f32_e32 v12, v13
	s_delay_alu instid0(VALU_DEP_4)
	v_fma_f32 v16, 0x3fb8aa3b, v7, -v10
	v_rndne_f32_e32 v17, v10
	v_mul_f32_e32 v11, 0x3fb8aa3b, v3
	v_add_f32_e32 v9, v9, v14
	v_exp_f32_e32 v8, v8
	v_fmac_f32_e32 v16, 0x32a5705f, v7
	v_sub_f32_e32 v10, v10, v17
	v_rndne_f32_e32 v19, v11
	v_fma_f32 v18, 0x3fb8aa3b, v3, -v11
	v_exp_f32_e32 v9, v9
	v_cvt_i32_f32_e32 v13, v15
	s_delay_alu instid0(VALU_DEP_3) | instskip(SKIP_1) | instid1(TRANS32_DEP_2)
	v_dual_add_f32 v10, v10, v16 :: v_dual_sub_f32 v11, v11, v19
	v_cvt_i32_f32_e32 v14, v17
	v_ldexp_f32 v8, v8, v12
	v_cvt_i32_f32_e32 v15, v19
	s_delay_alu instid0(VALU_DEP_4) | instskip(NEXT) | instid1(TRANS32_DEP_2)
	v_exp_f32_e32 v10, v10
	v_ldexp_f32 v9, v9, v13
	s_delay_alu instid0(VALU_DEP_3) | instskip(SKIP_1) | instid1(VALU_DEP_3)
	v_cndmask_b32_e32 v8, 0, v8, vcc_lo
	v_cmp_ngt_f32_e32 vcc_lo, 0xc2ce8ed0, v5
	v_dual_fmac_f32 v18, 0x32a5705f, v3 :: v_dual_cndmask_b32 v9, 0, v9
	s_waitcnt_depctr 0xfff
	v_ldexp_f32 v10, v10, v14
	v_cmp_ngt_f32_e32 vcc_lo, 0xc2ce8ed0, v7
	s_delay_alu instid0(VALU_DEP_2) | instskip(SKIP_2) | instid1(VALU_DEP_1)
	v_cndmask_b32_e32 v10, 0, v10, vcc_lo
	v_cmp_nlt_f32_e32 vcc_lo, 0x42b17218, v4
	v_dual_add_f32 v11, v11, v18 :: v_dual_cndmask_b32 v4, 0x7f800000, v8
	v_exp_f32_e32 v11, v11
	v_cmp_nlt_f32_e32 vcc_lo, 0x42b17218, v5
	v_cndmask_b32_e32 v5, 0x7f800000, v9, vcc_lo
	v_cmp_ngt_f32_e32 vcc_lo, 0xc2ce8ed0, v3
	s_waitcnt_depctr 0xfff
	v_ldexp_f32 v11, v11, v15
	s_delay_alu instid0(VALU_DEP_1) | instskip(SKIP_4) | instid1(VALU_DEP_2)
	v_cndmask_b32_e32 v8, 0, v11, vcc_lo
	v_cmp_nlt_f32_e32 vcc_lo, 0x42b17218, v7
	v_add_f32_e32 v7, v4, v5
	v_cndmask_b32_e32 v9, 0x7f800000, v10, vcc_lo
	v_cmp_nlt_f32_e32 vcc_lo, 0x42b17218, v3
	v_add_f32_e32 v7, v7, v9
	v_cndmask_b32_e32 v3, 0x7f800000, v8, vcc_lo
	s_delay_alu instid0(VALU_DEP_1) | instskip(NEXT) | instid1(VALU_DEP_1)
	v_add_f32_e32 v7, v7, v3
	v_div_scale_f32 v8, null, v7, v7, 1.0
	v_div_scale_f32 v12, vcc_lo, 1.0, v7, 1.0
	s_delay_alu instid0(VALU_DEP_2) | instskip(SKIP_2) | instid1(VALU_DEP_1)
	v_rcp_f32_e32 v10, v8
	s_waitcnt_depctr 0xfff
	v_fma_f32 v11, -v8, v10, 1.0
	v_fmac_f32_e32 v10, v11, v10
	s_delay_alu instid0(VALU_DEP_1) | instskip(NEXT) | instid1(VALU_DEP_1)
	v_mul_f32_e32 v11, v12, v10
	v_fma_f32 v13, -v8, v11, v12
	s_delay_alu instid0(VALU_DEP_1) | instskip(NEXT) | instid1(VALU_DEP_1)
	v_fmac_f32_e32 v11, v13, v10
	v_fma_f32 v8, -v8, v11, v12
	s_delay_alu instid0(VALU_DEP_1) | instskip(NEXT) | instid1(VALU_DEP_1)
	v_div_fmas_f32 v8, v8, v10, v11
	v_div_fixup_f32 v8, v8, v7, 1.0
	v_add_lshl_u32 v7, v1, v0, 4
	s_delay_alu instid0(VALU_DEP_2)
	v_mul_f32_e32 v0, v8, v4
	v_mul_f32_e32 v2, v8, v9
	;; [unrolled: 1-line block ×4, first 2 shown]
	ds_store_b128 v7, v[0:3]
	s_cbranch_scc1 .LBB49_9
; %bb.5:
	v_mul_lo_u32 v0, v6, s4
	s_load_b128 s[12:15], s[2:3], 0x20
	v_mov_b32_e32 v8, 0xc61c4000
	s_delay_alu instid0(VALU_DEP_2) | instskip(NEXT) | instid1(VALU_DEP_1)
	v_ashrrev_i32_e32 v1, 31, v0
	v_lshlrev_b64 v[4:5], 2, v[0:1]
	v_lshlrev_b64 v[2:3], 3, v[0:1]
	s_delay_alu instid0(VALU_DEP_2) | instskip(NEXT) | instid1(VALU_DEP_3)
	v_add_co_u32 v0, vcc_lo, s8, v4
	v_add_co_ci_u32_e32 v1, vcc_lo, s9, v5, vcc_lo
	s_waitcnt lgkmcnt(0)
	s_delay_alu instid0(VALU_DEP_3) | instskip(NEXT) | instid1(VALU_DEP_4)
	v_add_co_u32 v2, vcc_lo, s12, v2
	v_add_co_ci_u32_e32 v3, vcc_lo, s13, v3, vcc_lo
	v_add_co_u32 v4, vcc_lo, s14, v4
	v_add_co_ci_u32_e32 v5, vcc_lo, s15, v5, vcc_lo
	s_branch .LBB49_7
.LBB49_6:                               ;   in Loop: Header=BB49_7 Depth=1
	v_add_co_u32 v0, vcc_lo, v0, 4
	v_add_co_ci_u32_e32 v1, vcc_lo, 0, v1, vcc_lo
	v_add_co_u32 v2, vcc_lo, v2, 8
	v_add_co_ci_u32_e32 v3, vcc_lo, 0, v3, vcc_lo
	v_add_co_u32 v4, vcc_lo, v4, 4
	v_add_nc_u32_e32 v6, s10, v6
	v_add_co_ci_u32_e32 v5, vcc_lo, 0, v5, vcc_lo
	s_cmp_lg_u32 s4, s1
	s_cbranch_scc0 .LBB49_9
.LBB49_7:                               ; =>This Inner Loop Header: Depth=1
	ds_load_b128 v[9:12], v7
	s_add_i32 s1, s1, 1
	s_waitcnt lgkmcnt(0)
	v_cmp_gt_f32_e32 vcc_lo, v10, v9
	v_cndmask_b32_e32 v9, v9, v10, vcc_lo
	v_cndmask_b32_e64 v10, 0, 1, vcc_lo
	s_delay_alu instid0(VALU_DEP_2) | instskip(SKIP_1) | instid1(VALU_DEP_3)
	v_cmp_gt_f32_e32 vcc_lo, v11, v9
	v_cndmask_b32_e32 v9, v9, v11, vcc_lo
	v_cndmask_b32_e64 v10, v10, 2, vcc_lo
	s_delay_alu instid0(VALU_DEP_2) | instskip(SKIP_1) | instid1(VALU_DEP_3)
	v_cmp_gt_f32_e32 vcc_lo, v12, v9
	v_cndmask_b32_e32 v12, v9, v12, vcc_lo
	v_cndmask_b32_e64 v9, v10, 3, vcc_lo
	s_delay_alu instid0(VALU_DEP_1) | instskip(SKIP_2) | instid1(VALU_DEP_3)
	v_subrev_nc_u32_e32 v10, s5, v9
	v_cmp_le_i32_e32 vcc_lo, s5, v9
	v_cmp_gt_i32_e64 s0, s6, v9
	v_ashrrev_i32_e32 v11, 31, v10
	s_delay_alu instid0(VALU_DEP_2) | instskip(NEXT) | instid1(SALU_CYCLE_1)
	s_and_b32 s0, vcc_lo, s0
	s_and_b32 vcc_lo, s11, s0
	s_cmp_ge_i32 s1, s4
	s_delay_alu instid0(VALU_DEP_1)
	v_dual_cndmask_b32 v11, 0, v11 :: v_dual_cndmask_b32 v10, 4, v10
	global_store_b32 v[0:1], v12, off
	global_store_b64 v[2:3], v[10:11], off
	global_store_b32 v[4:5], v6, off
	s_cbranch_scc1 .LBB49_6
; %bb.8:                                ;   in Loop: Header=BB49_7 Depth=1
	v_lshl_add_u32 v9, v9, 2, v7
	ds_store_b32 v9, v8
	s_branch .LBB49_6
.LBB49_9:
	s_nop 0
	s_sendmsg sendmsg(MSG_DEALLOC_VGPRS)
	s_endpgm
	.section	.rodata,"a",@progbits
	.p2align	6, 0x0
	.amdhsa_kernel _ZN4vllm3moe17topkGatingSoftmaxILi4ELi4ELi4ELi16ELi64ElEEvPKfPKbPfiPT4_Piiii
		.amdhsa_group_segment_fixed_size 4096
		.amdhsa_private_segment_fixed_size 0
		.amdhsa_kernarg_size 60
		.amdhsa_user_sgpr_count 15
		.amdhsa_user_sgpr_dispatch_ptr 1
		.amdhsa_user_sgpr_queue_ptr 0
		.amdhsa_user_sgpr_kernarg_segment_ptr 1
		.amdhsa_user_sgpr_dispatch_id 0
		.amdhsa_user_sgpr_private_segment_size 0
		.amdhsa_wavefront_size32 1
		.amdhsa_uses_dynamic_stack 0
		.amdhsa_enable_private_segment 0
		.amdhsa_system_sgpr_workgroup_id_x 1
		.amdhsa_system_sgpr_workgroup_id_y 0
		.amdhsa_system_sgpr_workgroup_id_z 0
		.amdhsa_system_sgpr_workgroup_info 0
		.amdhsa_system_vgpr_workitem_id 2
		.amdhsa_next_free_vgpr 20
		.amdhsa_next_free_sgpr 16
		.amdhsa_reserve_vcc 1
		.amdhsa_float_round_mode_32 0
		.amdhsa_float_round_mode_16_64 0
		.amdhsa_float_denorm_mode_32 3
		.amdhsa_float_denorm_mode_16_64 3
		.amdhsa_dx10_clamp 1
		.amdhsa_ieee_mode 1
		.amdhsa_fp16_overflow 0
		.amdhsa_workgroup_processor_mode 1
		.amdhsa_memory_ordered 1
		.amdhsa_forward_progress 0
		.amdhsa_shared_vgpr_count 0
		.amdhsa_exception_fp_ieee_invalid_op 0
		.amdhsa_exception_fp_denorm_src 0
		.amdhsa_exception_fp_ieee_div_zero 0
		.amdhsa_exception_fp_ieee_overflow 0
		.amdhsa_exception_fp_ieee_underflow 0
		.amdhsa_exception_fp_ieee_inexact 0
		.amdhsa_exception_int_div_zero 0
	.end_amdhsa_kernel
	.section	.text._ZN4vllm3moe17topkGatingSoftmaxILi4ELi4ELi4ELi16ELi64ElEEvPKfPKbPfiPT4_Piiii,"axG",@progbits,_ZN4vllm3moe17topkGatingSoftmaxILi4ELi4ELi4ELi16ELi64ElEEvPKfPKbPfiPT4_Piiii,comdat
.Lfunc_end49:
	.size	_ZN4vllm3moe17topkGatingSoftmaxILi4ELi4ELi4ELi16ELi64ElEEvPKfPKbPfiPT4_Piiii, .Lfunc_end49-_ZN4vllm3moe17topkGatingSoftmaxILi4ELi4ELi4ELi16ELi64ElEEvPKfPKbPfiPT4_Piiii
                                        ; -- End function
	.section	.AMDGPU.csdata,"",@progbits
; Kernel info:
; codeLenInByte = 1172
; NumSgprs: 18
; NumVgprs: 20
; ScratchSize: 0
; MemoryBound: 0
; FloatMode: 240
; IeeeMode: 1
; LDSByteSize: 4096 bytes/workgroup (compile time only)
; SGPRBlocks: 2
; VGPRBlocks: 2
; NumSGPRsForWavesPerEU: 18
; NumVGPRsForWavesPerEU: 20
; Occupancy: 16
; WaveLimiterHint : 0
; COMPUTE_PGM_RSRC2:SCRATCH_EN: 0
; COMPUTE_PGM_RSRC2:USER_SGPR: 15
; COMPUTE_PGM_RSRC2:TRAP_HANDLER: 0
; COMPUTE_PGM_RSRC2:TGID_X_EN: 1
; COMPUTE_PGM_RSRC2:TGID_Y_EN: 0
; COMPUTE_PGM_RSRC2:TGID_Z_EN: 0
; COMPUTE_PGM_RSRC2:TIDIG_COMP_CNT: 2
	.section	.text._ZN4vllm3moe17topkGatingSoftmaxILi4ELi4ELi4ELi16ELi32ElEEvPKfPKbPfiPT4_Piiii,"axG",@progbits,_ZN4vllm3moe17topkGatingSoftmaxILi4ELi4ELi4ELi16ELi32ElEEvPKfPKbPfiPT4_Piiii,comdat
	.protected	_ZN4vllm3moe17topkGatingSoftmaxILi4ELi4ELi4ELi16ELi32ElEEvPKfPKbPfiPT4_Piiii ; -- Begin function _ZN4vllm3moe17topkGatingSoftmaxILi4ELi4ELi4ELi16ELi32ElEEvPKfPKbPfiPT4_Piiii
	.globl	_ZN4vllm3moe17topkGatingSoftmaxILi4ELi4ELi4ELi16ELi32ElEEvPKfPKbPfiPT4_Piiii
	.p2align	8
	.type	_ZN4vllm3moe17topkGatingSoftmaxILi4ELi4ELi4ELi16ELi32ElEEvPKfPKbPfiPT4_Piiii,@function
_ZN4vllm3moe17topkGatingSoftmaxILi4ELi4ELi4ELi16ELi32ElEEvPKfPKbPfiPT4_Piiii: ; @_ZN4vllm3moe17topkGatingSoftmaxILi4ELi4ELi4ELi16ELi32ElEEvPKfPKbPfiPT4_Piiii
; %bb.0:
	s_load_b32 s10, s[2:3], 0x18
	v_bfe_u32 v2, v0, 10, 10
	v_and_b32_e32 v1, 0x3ff, v0
	s_lshl_b32 s4, s15, 7
	s_delay_alu instid0(VALU_DEP_2) | instskip(NEXT) | instid1(VALU_DEP_1)
	v_lshlrev_b32_e32 v3, 5, v2
	v_add3_u32 v6, v3, v1, s4
	s_mov_b32 s4, exec_lo
	s_waitcnt lgkmcnt(0)
	s_delay_alu instid0(VALU_DEP_1)
	v_cmpx_gt_i32_e64 s10, v6
	s_cbranch_execz .LBB50_9
; %bb.1:
	s_clause 0x1
	s_load_b128 s[4:7], s[2:3], 0x0
	s_load_b64 s[8:9], s[2:3], 0x10
	s_waitcnt lgkmcnt(0)
	s_cmp_eq_u64 s[6:7], 0
	s_cbranch_scc1 .LBB50_3
; %bb.2:
	v_ashrrev_i32_e32 v4, 31, v6
	v_add_co_u32 v3, vcc_lo, s6, v6
	s_delay_alu instid0(VALU_DEP_2) | instskip(SKIP_3) | instid1(VALU_DEP_1)
	v_add_co_ci_u32_e32 v4, vcc_lo, s7, v4, vcc_lo
	global_load_u8 v3, v[3:4], off
	s_waitcnt vmcnt(0)
	v_and_b32_e32 v3, 1, v3
	v_cmp_eq_u32_e32 vcc_lo, 1, v3
	s_xor_b32 s6, vcc_lo, -1
	s_delay_alu instid0(SALU_CYCLE_1)
	s_or_not1_b32 s11, s6, exec_lo
	s_branch .LBB50_4
.LBB50_3:
	s_mov_b32 s11, -1
.LBB50_4:
	v_lshlrev_b32_e32 v3, 2, v6
	s_load_b64 s[0:1], s[0:1], 0x4
	v_bfe_u32 v0, v0, 20, 10
	s_delay_alu instid0(VALU_DEP_2) | instskip(NEXT) | instid1(VALU_DEP_1)
	v_ashrrev_i32_e32 v4, 31, v3
	v_lshlrev_b64 v[3:4], 2, v[3:4]
	s_delay_alu instid0(VALU_DEP_1) | instskip(NEXT) | instid1(VALU_DEP_2)
	v_add_co_u32 v3, vcc_lo, s4, v3
	v_add_co_ci_u32_e32 v4, vcc_lo, s5, v4, vcc_lo
	s_load_b128 s[4:7], s[2:3], 0x30
	s_waitcnt lgkmcnt(0)
	v_mul_u32_u24_e32 v2, s1, v2
	s_lshr_b32 s0, s0, 16
	global_load_b128 v[7:10], v[3:4], off
	s_mul_i32 s0, s0, s1
	s_mov_b32 s1, 0
	v_mad_u32_u24 v1, s0, v1, v2
	s_cmp_lt_i32 s4, 1
	s_waitcnt vmcnt(0)
	v_dual_max_f32 v4, v7, v7 :: v_dual_max_f32 v3, v8, v8
	s_delay_alu instid0(VALU_DEP_1) | instskip(NEXT) | instid1(VALU_DEP_1)
	v_max_f32_e32 v3, v4, v3
	v_max3_f32 v3, v3, v9, v10
	s_delay_alu instid0(VALU_DEP_1) | instskip(SKIP_2) | instid1(VALU_DEP_2)
	v_sub_f32_e32 v5, v8, v3
	v_sub_f32_e32 v4, v7, v3
	;; [unrolled: 1-line block ×3, first 2 shown]
	v_dual_mul_f32 v9, 0x3fb8aa3b, v5 :: v_dual_mul_f32 v8, 0x3fb8aa3b, v4
	v_cmp_ngt_f32_e32 vcc_lo, 0xc2ce8ed0, v4
	s_delay_alu instid0(VALU_DEP_2) | instskip(NEXT) | instid1(VALU_DEP_3)
	v_rndne_f32_e32 v15, v9
	v_fma_f32 v12, 0x3fb8aa3b, v4, -v8
	v_rndne_f32_e32 v13, v8
	s_delay_alu instid0(VALU_DEP_2) | instskip(NEXT) | instid1(VALU_DEP_2)
	v_fmac_f32_e32 v12, 0x32a5705f, v4
	v_sub_f32_e32 v8, v8, v13
	v_fma_f32 v14, 0x3fb8aa3b, v5, -v9
	v_sub_f32_e32 v3, v10, v3
	v_mul_f32_e32 v10, 0x3fb8aa3b, v7
	s_delay_alu instid0(VALU_DEP_4) | instskip(NEXT) | instid1(VALU_DEP_4)
	v_dual_sub_f32 v9, v9, v15 :: v_dual_add_f32 v8, v8, v12
	v_fmac_f32_e32 v14, 0x32a5705f, v5
	v_cvt_i32_f32_e32 v12, v13
	s_delay_alu instid0(VALU_DEP_4)
	v_fma_f32 v16, 0x3fb8aa3b, v7, -v10
	v_rndne_f32_e32 v17, v10
	v_mul_f32_e32 v11, 0x3fb8aa3b, v3
	v_add_f32_e32 v9, v9, v14
	v_exp_f32_e32 v8, v8
	v_fmac_f32_e32 v16, 0x32a5705f, v7
	v_sub_f32_e32 v10, v10, v17
	v_rndne_f32_e32 v19, v11
	v_fma_f32 v18, 0x3fb8aa3b, v3, -v11
	v_exp_f32_e32 v9, v9
	v_cvt_i32_f32_e32 v13, v15
	s_delay_alu instid0(VALU_DEP_3) | instskip(SKIP_1) | instid1(TRANS32_DEP_2)
	v_dual_add_f32 v10, v10, v16 :: v_dual_sub_f32 v11, v11, v19
	v_cvt_i32_f32_e32 v14, v17
	v_ldexp_f32 v8, v8, v12
	v_cvt_i32_f32_e32 v15, v19
	s_delay_alu instid0(VALU_DEP_4) | instskip(NEXT) | instid1(TRANS32_DEP_2)
	v_exp_f32_e32 v10, v10
	v_ldexp_f32 v9, v9, v13
	s_delay_alu instid0(VALU_DEP_3) | instskip(SKIP_1) | instid1(VALU_DEP_3)
	v_cndmask_b32_e32 v8, 0, v8, vcc_lo
	v_cmp_ngt_f32_e32 vcc_lo, 0xc2ce8ed0, v5
	v_dual_fmac_f32 v18, 0x32a5705f, v3 :: v_dual_cndmask_b32 v9, 0, v9
	s_waitcnt_depctr 0xfff
	v_ldexp_f32 v10, v10, v14
	v_cmp_ngt_f32_e32 vcc_lo, 0xc2ce8ed0, v7
	s_delay_alu instid0(VALU_DEP_2) | instskip(SKIP_2) | instid1(VALU_DEP_1)
	v_cndmask_b32_e32 v10, 0, v10, vcc_lo
	v_cmp_nlt_f32_e32 vcc_lo, 0x42b17218, v4
	v_dual_add_f32 v11, v11, v18 :: v_dual_cndmask_b32 v4, 0x7f800000, v8
	v_exp_f32_e32 v11, v11
	v_cmp_nlt_f32_e32 vcc_lo, 0x42b17218, v5
	v_cndmask_b32_e32 v5, 0x7f800000, v9, vcc_lo
	v_cmp_ngt_f32_e32 vcc_lo, 0xc2ce8ed0, v3
	s_waitcnt_depctr 0xfff
	v_ldexp_f32 v11, v11, v15
	s_delay_alu instid0(VALU_DEP_1) | instskip(SKIP_4) | instid1(VALU_DEP_2)
	v_cndmask_b32_e32 v8, 0, v11, vcc_lo
	v_cmp_nlt_f32_e32 vcc_lo, 0x42b17218, v7
	v_add_f32_e32 v7, v4, v5
	v_cndmask_b32_e32 v9, 0x7f800000, v10, vcc_lo
	v_cmp_nlt_f32_e32 vcc_lo, 0x42b17218, v3
	v_add_f32_e32 v7, v7, v9
	v_cndmask_b32_e32 v3, 0x7f800000, v8, vcc_lo
	s_delay_alu instid0(VALU_DEP_1) | instskip(NEXT) | instid1(VALU_DEP_1)
	v_add_f32_e32 v7, v7, v3
	v_div_scale_f32 v8, null, v7, v7, 1.0
	v_div_scale_f32 v12, vcc_lo, 1.0, v7, 1.0
	s_delay_alu instid0(VALU_DEP_2) | instskip(SKIP_2) | instid1(VALU_DEP_1)
	v_rcp_f32_e32 v10, v8
	s_waitcnt_depctr 0xfff
	v_fma_f32 v11, -v8, v10, 1.0
	v_fmac_f32_e32 v10, v11, v10
	s_delay_alu instid0(VALU_DEP_1) | instskip(NEXT) | instid1(VALU_DEP_1)
	v_mul_f32_e32 v11, v12, v10
	v_fma_f32 v13, -v8, v11, v12
	s_delay_alu instid0(VALU_DEP_1) | instskip(NEXT) | instid1(VALU_DEP_1)
	v_fmac_f32_e32 v11, v13, v10
	v_fma_f32 v8, -v8, v11, v12
	s_delay_alu instid0(VALU_DEP_1) | instskip(NEXT) | instid1(VALU_DEP_1)
	v_div_fmas_f32 v8, v8, v10, v11
	v_div_fixup_f32 v8, v8, v7, 1.0
	v_add_lshl_u32 v7, v1, v0, 4
	s_delay_alu instid0(VALU_DEP_2)
	v_mul_f32_e32 v0, v8, v4
	v_mul_f32_e32 v2, v8, v9
	;; [unrolled: 1-line block ×4, first 2 shown]
	ds_store_b128 v7, v[0:3]
	s_cbranch_scc1 .LBB50_9
; %bb.5:
	v_mul_lo_u32 v0, v6, s4
	s_load_b128 s[12:15], s[2:3], 0x20
	v_mov_b32_e32 v8, 0xc61c4000
	s_delay_alu instid0(VALU_DEP_2) | instskip(NEXT) | instid1(VALU_DEP_1)
	v_ashrrev_i32_e32 v1, 31, v0
	v_lshlrev_b64 v[4:5], 2, v[0:1]
	v_lshlrev_b64 v[2:3], 3, v[0:1]
	s_delay_alu instid0(VALU_DEP_2) | instskip(NEXT) | instid1(VALU_DEP_3)
	v_add_co_u32 v0, vcc_lo, s8, v4
	v_add_co_ci_u32_e32 v1, vcc_lo, s9, v5, vcc_lo
	s_waitcnt lgkmcnt(0)
	s_delay_alu instid0(VALU_DEP_3) | instskip(NEXT) | instid1(VALU_DEP_4)
	v_add_co_u32 v2, vcc_lo, s12, v2
	v_add_co_ci_u32_e32 v3, vcc_lo, s13, v3, vcc_lo
	v_add_co_u32 v4, vcc_lo, s14, v4
	v_add_co_ci_u32_e32 v5, vcc_lo, s15, v5, vcc_lo
	s_branch .LBB50_7
.LBB50_6:                               ;   in Loop: Header=BB50_7 Depth=1
	v_add_co_u32 v0, vcc_lo, v0, 4
	v_add_co_ci_u32_e32 v1, vcc_lo, 0, v1, vcc_lo
	v_add_co_u32 v2, vcc_lo, v2, 8
	v_add_co_ci_u32_e32 v3, vcc_lo, 0, v3, vcc_lo
	v_add_co_u32 v4, vcc_lo, v4, 4
	v_add_nc_u32_e32 v6, s10, v6
	v_add_co_ci_u32_e32 v5, vcc_lo, 0, v5, vcc_lo
	s_cmp_lg_u32 s4, s1
	s_cbranch_scc0 .LBB50_9
.LBB50_7:                               ; =>This Inner Loop Header: Depth=1
	ds_load_b128 v[9:12], v7
	s_add_i32 s1, s1, 1
	s_waitcnt lgkmcnt(0)
	v_cmp_gt_f32_e32 vcc_lo, v10, v9
	v_cndmask_b32_e32 v9, v9, v10, vcc_lo
	v_cndmask_b32_e64 v10, 0, 1, vcc_lo
	s_delay_alu instid0(VALU_DEP_2) | instskip(SKIP_1) | instid1(VALU_DEP_3)
	v_cmp_gt_f32_e32 vcc_lo, v11, v9
	v_cndmask_b32_e32 v9, v9, v11, vcc_lo
	v_cndmask_b32_e64 v10, v10, 2, vcc_lo
	s_delay_alu instid0(VALU_DEP_2) | instskip(SKIP_1) | instid1(VALU_DEP_3)
	v_cmp_gt_f32_e32 vcc_lo, v12, v9
	v_cndmask_b32_e32 v12, v9, v12, vcc_lo
	v_cndmask_b32_e64 v9, v10, 3, vcc_lo
	s_delay_alu instid0(VALU_DEP_1) | instskip(SKIP_2) | instid1(VALU_DEP_3)
	v_subrev_nc_u32_e32 v10, s5, v9
	v_cmp_le_i32_e32 vcc_lo, s5, v9
	v_cmp_gt_i32_e64 s0, s6, v9
	v_ashrrev_i32_e32 v11, 31, v10
	s_delay_alu instid0(VALU_DEP_2) | instskip(NEXT) | instid1(SALU_CYCLE_1)
	s_and_b32 s0, vcc_lo, s0
	s_and_b32 vcc_lo, s11, s0
	s_cmp_ge_i32 s1, s4
	s_delay_alu instid0(VALU_DEP_1)
	v_dual_cndmask_b32 v11, 0, v11 :: v_dual_cndmask_b32 v10, 4, v10
	global_store_b32 v[0:1], v12, off
	global_store_b64 v[2:3], v[10:11], off
	global_store_b32 v[4:5], v6, off
	s_cbranch_scc1 .LBB50_6
; %bb.8:                                ;   in Loop: Header=BB50_7 Depth=1
	v_lshl_add_u32 v9, v9, 2, v7
	ds_store_b32 v9, v8
	s_branch .LBB50_6
.LBB50_9:
	s_nop 0
	s_sendmsg sendmsg(MSG_DEALLOC_VGPRS)
	s_endpgm
	.section	.rodata,"a",@progbits
	.p2align	6, 0x0
	.amdhsa_kernel _ZN4vllm3moe17topkGatingSoftmaxILi4ELi4ELi4ELi16ELi32ElEEvPKfPKbPfiPT4_Piiii
		.amdhsa_group_segment_fixed_size 2048
		.amdhsa_private_segment_fixed_size 0
		.amdhsa_kernarg_size 60
		.amdhsa_user_sgpr_count 15
		.amdhsa_user_sgpr_dispatch_ptr 1
		.amdhsa_user_sgpr_queue_ptr 0
		.amdhsa_user_sgpr_kernarg_segment_ptr 1
		.amdhsa_user_sgpr_dispatch_id 0
		.amdhsa_user_sgpr_private_segment_size 0
		.amdhsa_wavefront_size32 1
		.amdhsa_uses_dynamic_stack 0
		.amdhsa_enable_private_segment 0
		.amdhsa_system_sgpr_workgroup_id_x 1
		.amdhsa_system_sgpr_workgroup_id_y 0
		.amdhsa_system_sgpr_workgroup_id_z 0
		.amdhsa_system_sgpr_workgroup_info 0
		.amdhsa_system_vgpr_workitem_id 2
		.amdhsa_next_free_vgpr 20
		.amdhsa_next_free_sgpr 16
		.amdhsa_reserve_vcc 1
		.amdhsa_float_round_mode_32 0
		.amdhsa_float_round_mode_16_64 0
		.amdhsa_float_denorm_mode_32 3
		.amdhsa_float_denorm_mode_16_64 3
		.amdhsa_dx10_clamp 1
		.amdhsa_ieee_mode 1
		.amdhsa_fp16_overflow 0
		.amdhsa_workgroup_processor_mode 1
		.amdhsa_memory_ordered 1
		.amdhsa_forward_progress 0
		.amdhsa_shared_vgpr_count 0
		.amdhsa_exception_fp_ieee_invalid_op 0
		.amdhsa_exception_fp_denorm_src 0
		.amdhsa_exception_fp_ieee_div_zero 0
		.amdhsa_exception_fp_ieee_overflow 0
		.amdhsa_exception_fp_ieee_underflow 0
		.amdhsa_exception_fp_ieee_inexact 0
		.amdhsa_exception_int_div_zero 0
	.end_amdhsa_kernel
	.section	.text._ZN4vllm3moe17topkGatingSoftmaxILi4ELi4ELi4ELi16ELi32ElEEvPKfPKbPfiPT4_Piiii,"axG",@progbits,_ZN4vllm3moe17topkGatingSoftmaxILi4ELi4ELi4ELi16ELi32ElEEvPKfPKbPfiPT4_Piiii,comdat
.Lfunc_end50:
	.size	_ZN4vllm3moe17topkGatingSoftmaxILi4ELi4ELi4ELi16ELi32ElEEvPKfPKbPfiPT4_Piiii, .Lfunc_end50-_ZN4vllm3moe17topkGatingSoftmaxILi4ELi4ELi4ELi16ELi32ElEEvPKfPKbPfiPT4_Piiii
                                        ; -- End function
	.section	.AMDGPU.csdata,"",@progbits
; Kernel info:
; codeLenInByte = 1164
; NumSgprs: 18
; NumVgprs: 20
; ScratchSize: 0
; MemoryBound: 0
; FloatMode: 240
; IeeeMode: 1
; LDSByteSize: 2048 bytes/workgroup (compile time only)
; SGPRBlocks: 2
; VGPRBlocks: 2
; NumSGPRsForWavesPerEU: 18
; NumVGPRsForWavesPerEU: 20
; Occupancy: 16
; WaveLimiterHint : 0
; COMPUTE_PGM_RSRC2:SCRATCH_EN: 0
; COMPUTE_PGM_RSRC2:USER_SGPR: 15
; COMPUTE_PGM_RSRC2:TRAP_HANDLER: 0
; COMPUTE_PGM_RSRC2:TGID_X_EN: 1
; COMPUTE_PGM_RSRC2:TGID_Y_EN: 0
; COMPUTE_PGM_RSRC2:TGID_Z_EN: 0
; COMPUTE_PGM_RSRC2:TIDIG_COMP_CNT: 2
	.section	.text._ZN4vllm3moe17topkGatingSoftmaxILi4ELi8ELi4ELi16ELi64ElEEvPKfPKbPfiPT4_Piiii,"axG",@progbits,_ZN4vllm3moe17topkGatingSoftmaxILi4ELi8ELi4ELi16ELi64ElEEvPKfPKbPfiPT4_Piiii,comdat
	.protected	_ZN4vllm3moe17topkGatingSoftmaxILi4ELi8ELi4ELi16ELi64ElEEvPKfPKbPfiPT4_Piiii ; -- Begin function _ZN4vllm3moe17topkGatingSoftmaxILi4ELi8ELi4ELi16ELi64ElEEvPKfPKbPfiPT4_Piiii
	.globl	_ZN4vllm3moe17topkGatingSoftmaxILi4ELi8ELi4ELi16ELi64ElEEvPKfPKbPfiPT4_Piiii
	.p2align	8
	.type	_ZN4vllm3moe17topkGatingSoftmaxILi4ELi8ELi4ELi16ELi64ElEEvPKfPKbPfiPT4_Piiii,@function
_ZN4vllm3moe17topkGatingSoftmaxILi4ELi8ELi4ELi16ELi64ElEEvPKfPKbPfiPT4_Piiii: ; @_ZN4vllm3moe17topkGatingSoftmaxILi4ELi8ELi4ELi16ELi64ElEEvPKfPKbPfiPT4_Piiii
; %bb.0:
	s_load_b32 s14, s[2:3], 0x18
	v_bfe_u32 v4, v0, 10, 10
	v_and_b32_e32 v5, 0x3ff, v0
	s_lshl_b32 s4, s15, 7
	s_delay_alu instid0(VALU_DEP_2) | instskip(NEXT) | instid1(VALU_DEP_2)
	v_lshlrev_b32_e32 v1, 5, v4
	v_lshrrev_b32_e32 v2, 1, v5
	s_delay_alu instid0(VALU_DEP_1) | instskip(SKIP_2) | instid1(VALU_DEP_1)
	v_add3_u32 v1, s4, v1, v2
	s_mov_b32 s4, exec_lo
	s_waitcnt lgkmcnt(0)
	v_cmpx_gt_i32_e64 s14, v1
	s_cbranch_execz .LBB51_14
; %bb.1:
	s_clause 0x1
	s_load_b128 s[4:7], s[2:3], 0x0
	s_load_b64 s[12:13], s[2:3], 0x10
	s_mov_b32 s15, -1
	s_waitcnt lgkmcnt(0)
	s_cmp_eq_u64 s[6:7], 0
	s_cbranch_scc1 .LBB51_3
; %bb.2:
	v_ashrrev_i32_e32 v3, 31, v1
	v_add_co_u32 v2, vcc_lo, s6, v1
	s_delay_alu instid0(VALU_DEP_2) | instskip(SKIP_3) | instid1(VALU_DEP_1)
	v_add_co_ci_u32_e32 v3, vcc_lo, s7, v3, vcc_lo
	global_load_u8 v2, v[2:3], off
	s_waitcnt vmcnt(0)
	v_and_b32_e32 v2, 1, v2
	v_cmp_eq_u32_e32 vcc_lo, 1, v2
	s_xor_b32 s6, vcc_lo, -1
	s_delay_alu instid0(SALU_CYCLE_1)
	s_or_not1_b32 s15, s6, exec_lo
.LBB51_3:
	v_lshlrev_b32_e32 v6, 3, v1
	v_and_b32_e32 v2, 1, v5
	s_load_b64 s[0:1], s[0:1], 0x4
	v_bfe_u32 v0, v0, 20, 10
	s_delay_alu instid0(VALU_DEP_3) | instskip(NEXT) | instid1(VALU_DEP_3)
	v_ashrrev_i32_e32 v7, 31, v6
	v_lshlrev_b32_e32 v3, 4, v2
	s_delay_alu instid0(VALU_DEP_2) | instskip(NEXT) | instid1(VALU_DEP_1)
	v_lshlrev_b64 v[6:7], 2, v[6:7]
	v_add_co_u32 v6, vcc_lo, s4, v6
	s_delay_alu instid0(VALU_DEP_2) | instskip(SKIP_1) | instid1(VALU_DEP_2)
	v_add_co_ci_u32_e32 v7, vcc_lo, s5, v7, vcc_lo
	s_load_b128 s[4:7], s[2:3], 0x30
	v_add_co_u32 v6, vcc_lo, v6, v3
	s_delay_alu instid0(VALU_DEP_2)
	v_add_co_ci_u32_e32 v7, vcc_lo, 0, v7, vcc_lo
	v_mbcnt_lo_u32_b32 v3, -1, 0
	s_waitcnt lgkmcnt(0)
	s_lshr_b32 s0, s0, 16
	s_mov_b32 s7, 0
	global_load_b128 v[6:9], v[6:7], off
	s_mul_i32 s0, s0, s1
	v_and_b32_e32 v10, 30, v3
	v_xor_b32_e32 v11, 1, v3
	v_mul_lo_u32 v5, s0, v5
	s_delay_alu instid0(VALU_DEP_3) | instskip(NEXT) | instid1(VALU_DEP_1)
	v_add_nc_u32_e32 v10, 2, v10
	v_cmp_lt_i32_e32 vcc_lo, v11, v10
	s_delay_alu instid0(VALU_DEP_3) | instskip(SKIP_2) | instid1(VALU_DEP_2)
	v_mad_u32_u24 v4, v4, s1, v5
	s_cmp_lt_i32 s4, 1
	v_cndmask_b32_e32 v3, v3, v11, vcc_lo
	v_add_lshl_u32 v0, v4, v0, 4
	s_delay_alu instid0(VALU_DEP_2) | instskip(SKIP_2) | instid1(VALU_DEP_1)
	v_lshlrev_b32_e32 v3, 2, v3
	s_waitcnt vmcnt(0)
	v_dual_max_f32 v12, v7, v7 :: v_dual_max_f32 v13, v6, v6
	v_max_f32_e32 v10, v13, v12
	s_delay_alu instid0(VALU_DEP_1) | instskip(SKIP_3) | instid1(VALU_DEP_1)
	v_max3_f32 v10, v10, v8, v9
	ds_bpermute_b32 v11, v3, v10
	s_waitcnt lgkmcnt(0)
	v_max_f32_e32 v11, v11, v11
	v_max_f32_e32 v10, v10, v11
	s_delay_alu instid0(VALU_DEP_1) | instskip(NEXT) | instid1(VALU_DEP_1)
	v_sub_f32_e32 v7, v7, v10
	v_mul_f32_e32 v11, 0x3fb8aa3b, v7
	s_delay_alu instid0(VALU_DEP_1) | instskip(SKIP_1) | instid1(VALU_DEP_2)
	v_rndne_f32_e32 v17, v11
	v_fma_f32 v16, 0x3fb8aa3b, v7, -v11
	v_sub_f32_e32 v11, v11, v17
	v_sub_f32_e32 v9, v9, v10
	s_delay_alu instid0(VALU_DEP_1) | instskip(NEXT) | instid1(VALU_DEP_1)
	v_dual_sub_f32 v8, v8, v10 :: v_dual_mul_f32 v13, 0x3fb8aa3b, v9
	v_mul_f32_e32 v12, 0x3fb8aa3b, v8
	v_fmac_f32_e32 v16, 0x32a5705f, v7
	s_delay_alu instid0(VALU_DEP_3) | instskip(SKIP_2) | instid1(VALU_DEP_4)
	v_rndne_f32_e32 v21, v13
	v_sub_f32_e32 v6, v6, v10
	v_fma_f32 v20, 0x3fb8aa3b, v9, -v13
	v_add_f32_e32 v11, v11, v16
	v_fma_f32 v18, 0x3fb8aa3b, v8, -v12
	s_delay_alu instid0(VALU_DEP_4) | instskip(SKIP_1) | instid1(VALU_DEP_4)
	v_dual_sub_f32 v13, v13, v21 :: v_dual_mul_f32 v10, 0x3fb8aa3b, v6
	v_rndne_f32_e32 v19, v12
	v_exp_f32_e32 v11, v11
	v_cmp_ngt_f32_e32 vcc_lo, 0xc2ce8ed0, v6
	v_fmac_f32_e32 v18, 0x32a5705f, v8
	v_fma_f32 v14, 0x3fb8aa3b, v6, -v10
	v_rndne_f32_e32 v15, v10
	v_sub_f32_e32 v12, v12, v19
	v_cvt_i32_f32_e32 v16, v19
	s_delay_alu instid0(VALU_DEP_4) | instskip(NEXT) | instid1(VALU_DEP_4)
	v_fmac_f32_e32 v14, 0x32a5705f, v6
	v_sub_f32_e32 v10, v10, v15
	v_fmac_f32_e32 v20, 0x32a5705f, v9
	s_delay_alu instid0(VALU_DEP_2) | instskip(SKIP_2) | instid1(VALU_DEP_4)
	v_add_f32_e32 v10, v10, v14
	v_cvt_i32_f32_e32 v14, v15
	v_cvt_i32_f32_e32 v15, v17
	v_add_f32_e32 v13, v13, v20
	v_cvt_i32_f32_e32 v17, v21
	v_exp_f32_e32 v10, v10
	s_delay_alu instid0(VALU_DEP_3) | instskip(NEXT) | instid1(VALU_DEP_3)
	v_ldexp_f32 v11, v11, v15
	v_exp_f32_e32 v13, v13
	s_waitcnt_depctr 0xfff
	v_ldexp_f32 v10, v10, v14
	v_ldexp_f32 v13, v13, v17
	s_delay_alu instid0(VALU_DEP_2) | instskip(SKIP_3) | instid1(VALU_DEP_2)
	v_cndmask_b32_e32 v10, 0, v10, vcc_lo
	v_cmp_ngt_f32_e32 vcc_lo, 0xc2ce8ed0, v7
	v_dual_cndmask_b32 v11, 0, v11 :: v_dual_add_f32 v12, v12, v18
	v_cmp_ngt_f32_e32 vcc_lo, 0xc2ce8ed0, v8
	v_exp_f32_e32 v12, v12
	s_waitcnt_depctr 0xfff
	v_ldexp_f32 v12, v12, v16
	s_delay_alu instid0(VALU_DEP_1)
	v_cndmask_b32_e32 v12, 0, v12, vcc_lo
	v_cmp_nlt_f32_e32 vcc_lo, 0x42b17218, v6
	v_cndmask_b32_e32 v6, 0x7f800000, v10, vcc_lo
	v_cmp_nlt_f32_e32 vcc_lo, 0x42b17218, v7
	v_cndmask_b32_e32 v7, 0x7f800000, v11, vcc_lo
	v_cmp_ngt_f32_e32 vcc_lo, 0xc2ce8ed0, v9
	s_delay_alu instid0(VALU_DEP_2) | instskip(SKIP_3) | instid1(VALU_DEP_2)
	v_dual_add_f32 v11, v6, v7 :: v_dual_cndmask_b32 v10, 0, v13
	v_cmp_nlt_f32_e32 vcc_lo, 0x42b17218, v8
	v_cndmask_b32_e32 v8, 0x7f800000, v12, vcc_lo
	v_cmp_nlt_f32_e32 vcc_lo, 0x42b17218, v9
	v_dual_cndmask_b32 v9, 0x7f800000, v10 :: v_dual_add_f32 v10, v11, v8
	s_delay_alu instid0(VALU_DEP_1) | instskip(SKIP_3) | instid1(VALU_DEP_1)
	v_add_f32_e32 v10, v10, v9
	ds_bpermute_b32 v11, v3, v10
	s_waitcnt lgkmcnt(0)
	v_add_f32_e32 v10, v10, v11
	v_div_scale_f32 v11, null, v10, v10, 1.0
	v_div_scale_f32 v14, vcc_lo, 1.0, v10, 1.0
	s_delay_alu instid0(VALU_DEP_2) | instskip(SKIP_2) | instid1(VALU_DEP_1)
	v_rcp_f32_e32 v12, v11
	s_waitcnt_depctr 0xfff
	v_fma_f32 v13, -v11, v12, 1.0
	v_fmac_f32_e32 v12, v13, v12
	s_delay_alu instid0(VALU_DEP_1) | instskip(NEXT) | instid1(VALU_DEP_1)
	v_mul_f32_e32 v13, v14, v12
	v_fma_f32 v15, -v11, v13, v14
	s_delay_alu instid0(VALU_DEP_1) | instskip(NEXT) | instid1(VALU_DEP_1)
	v_fmac_f32_e32 v13, v15, v12
	v_fma_f32 v11, -v11, v13, v14
	s_delay_alu instid0(VALU_DEP_1) | instskip(NEXT) | instid1(VALU_DEP_1)
	v_div_fmas_f32 v11, v11, v12, v13
	v_div_fixup_f32 v10, v11, v10, 1.0
	s_delay_alu instid0(VALU_DEP_1)
	v_mul_f32_e32 v5, v10, v7
	v_mul_f32_e32 v7, v10, v9
	;; [unrolled: 1-line block ×4, first 2 shown]
	ds_store_b128 v0, v[4:7]
	s_cbranch_scc1 .LBB51_14
; %bb.4:
	s_load_b128 s[8:11], s[2:3], 0x20
	v_mul_lo_u32 v4, v1, s4
	v_dual_mov_b32 v6, 0xc61c4000 :: v_dual_lshlrev_b32 v5, 2, v2
	v_cmp_eq_u32_e32 vcc_lo, 0, v2
	s_branch .LBB51_6
.LBB51_5:                               ;   in Loop: Header=BB51_6 Depth=1
	s_or_b32 exec_lo, exec_lo, s0
	v_add_nc_u32_e32 v1, s14, v1
	s_cmp_lg_u32 s4, s7
	s_cbranch_scc0 .LBB51_14
.LBB51_6:                               ; =>This Inner Loop Header: Depth=1
	ds_load_b128 v[7:10], v0
	s_mov_b32 s3, exec_lo
	s_waitcnt lgkmcnt(0)
	v_cmp_gt_f32_e64 s0, v8, v7
	s_delay_alu instid0(VALU_DEP_1) | instskip(SKIP_1) | instid1(VALU_DEP_2)
	v_cndmask_b32_e64 v7, v7, v8, s0
	v_cndmask_b32_e64 v8, 0, 1, s0
	v_cmp_gt_f32_e64 s0, v9, v7
	s_delay_alu instid0(VALU_DEP_1) | instskip(NEXT) | instid1(VALU_DEP_3)
	v_cndmask_b32_e64 v7, v7, v9, s0
	v_cndmask_b32_e64 v9, v8, 2, s0
	s_delay_alu instid0(VALU_DEP_2) | instskip(NEXT) | instid1(VALU_DEP_1)
	v_cmp_gt_f32_e64 s0, v10, v7
	v_cndmask_b32_e64 v8, v7, v10, s0
	s_delay_alu instid0(VALU_DEP_3)
	v_cndmask_b32_e64 v7, v9, 3, s0
	ds_bpermute_b32 v9, v3, v8
	v_or_b32_e32 v7, v5, v7
	ds_bpermute_b32 v10, v3, v7
	s_waitcnt lgkmcnt(1)
	v_cmp_lt_f32_e64 s2, v8, v9
	v_cmpx_nlt_f32_e32 v8, v9
	s_cbranch_execnz .LBB51_12
; %bb.7:                                ;   in Loop: Header=BB51_6 Depth=1
	s_or_b32 exec_lo, exec_lo, s3
	s_delay_alu instid0(VALU_DEP_2)
	s_and_saveexec_b32 s0, s2
	s_cbranch_execnz .LBB51_13
.LBB51_8:                               ;   in Loop: Header=BB51_6 Depth=1
	s_or_b32 exec_lo, exec_lo, s0
	s_and_saveexec_b32 s2, vcc_lo
	s_cbranch_execz .LBB51_10
.LBB51_9:                               ;   in Loop: Header=BB51_6 Depth=1
	v_add_nc_u32_e32 v9, s7, v4
	v_subrev_nc_u32_e32 v13, s5, v7
	v_cmp_le_i32_e64 s0, s5, v7
	v_cmp_gt_i32_e64 s1, s6, v7
	s_waitcnt lgkmcnt(0)
	v_ashrrev_i32_e32 v10, 31, v9
	v_ashrrev_i32_e32 v14, 31, v13
	s_delay_alu instid0(VALU_DEP_3) | instskip(NEXT) | instid1(SALU_CYCLE_1)
	s_and_b32 s0, s0, s1
	s_and_b32 s0, s15, s0
	s_delay_alu instid0(VALU_DEP_2) | instskip(SKIP_3) | instid1(VALU_DEP_4)
	v_lshlrev_b64 v[11:12], 2, v[9:10]
	v_lshlrev_b64 v[9:10], 3, v[9:10]
	v_cndmask_b32_e64 v14, 0, v14, s0
	v_cndmask_b32_e64 v13, 8, v13, s0
	v_add_co_u32 v15, s0, s12, v11
	s_delay_alu instid0(VALU_DEP_1) | instskip(SKIP_1) | instid1(VALU_DEP_1)
	v_add_co_ci_u32_e64 v16, s0, s13, v12, s0
	v_add_co_u32 v9, s0, s8, v9
	v_add_co_ci_u32_e64 v10, s0, s9, v10, s0
	v_add_co_u32 v11, s0, s10, v11
	s_delay_alu instid0(VALU_DEP_1)
	v_add_co_ci_u32_e64 v12, s0, s11, v12, s0
	global_store_b32 v[15:16], v8, off
	global_store_b64 v[9:10], v[13:14], off
	global_store_b32 v[11:12], v1, off
.LBB51_10:                              ;   in Loop: Header=BB51_6 Depth=1
	s_or_b32 exec_lo, exec_lo, s2
	v_ashrrev_i32_e32 v8, 31, v7
	s_add_i32 s7, s7, 1
	s_delay_alu instid0(SALU_CYCLE_1) | instskip(SKIP_1) | instid1(VALU_DEP_1)
	s_cmp_lt_i32 s7, s4
	s_cselect_b32 s1, -1, 0
	v_lshrrev_b32_e32 v9, 30, v8
	s_waitcnt lgkmcnt(0)
	s_delay_alu instid0(VALU_DEP_1) | instskip(NEXT) | instid1(VALU_DEP_1)
	v_add_nc_u32_e32 v10, v7, v9
	v_ashrrev_i32_e32 v9, 2, v10
	v_lshrrev_b32_e32 v10, 31, v10
	s_delay_alu instid0(VALU_DEP_1) | instskip(NEXT) | instid1(VALU_DEP_1)
	v_add_nc_u32_e32 v10, v9, v10
	v_and_b32_e32 v10, -2, v10
	s_delay_alu instid0(VALU_DEP_1) | instskip(NEXT) | instid1(VALU_DEP_1)
	v_sub_nc_u32_e32 v10, v9, v10
	v_cmp_eq_u32_e64 s0, v2, v10
	s_delay_alu instid0(VALU_DEP_1) | instskip(NEXT) | instid1(SALU_CYCLE_1)
	s_and_b32 s1, s1, s0
	s_and_saveexec_b32 s0, s1
	s_cbranch_execz .LBB51_5
; %bb.11:                               ;   in Loop: Header=BB51_6 Depth=1
	v_lshrrev_b32_e32 v8, 29, v8
	v_lshlrev_b32_e32 v9, 2, v9
	s_delay_alu instid0(VALU_DEP_2) | instskip(NEXT) | instid1(VALU_DEP_2)
	v_add_nc_u32_e32 v8, v7, v8
	v_sub_nc_u32_e32 v7, v7, v9
	s_delay_alu instid0(VALU_DEP_2) | instskip(NEXT) | instid1(VALU_DEP_1)
	v_lshrrev_b32_e32 v8, 1, v8
	v_and_b32_e32 v8, 0x7ffffffc, v8
	s_delay_alu instid0(VALU_DEP_1) | instskip(NEXT) | instid1(VALU_DEP_1)
	v_add_nc_u32_e32 v7, v8, v7
	v_lshl_add_u32 v7, v7, 2, v0
	ds_store_b32 v7, v6
	s_branch .LBB51_5
.LBB51_12:                              ;   in Loop: Header=BB51_6 Depth=1
	v_cmp_eq_f32_e64 s0, v8, v9
	s_waitcnt lgkmcnt(0)
	v_cmp_lt_i32_e64 s1, v10, v7
	s_delay_alu instid0(VALU_DEP_1) | instskip(SKIP_2) | instid1(SALU_CYCLE_1)
	s_and_b32 s0, s0, s1
	s_and_not1_b32 s1, s2, exec_lo
	s_and_b32 s0, s0, exec_lo
	s_or_b32 s2, s1, s0
	s_or_b32 exec_lo, exec_lo, s3
	s_and_saveexec_b32 s0, s2
	s_cbranch_execz .LBB51_8
.LBB51_13:                              ;   in Loop: Header=BB51_6 Depth=1
	s_waitcnt lgkmcnt(0)
	v_dual_mov_b32 v8, v9 :: v_dual_mov_b32 v7, v10
	s_or_b32 exec_lo, exec_lo, s0
	s_and_saveexec_b32 s2, vcc_lo
	s_cbranch_execnz .LBB51_9
	s_branch .LBB51_10
.LBB51_14:
	s_nop 0
	s_sendmsg sendmsg(MSG_DEALLOC_VGPRS)
	s_endpgm
	.section	.rodata,"a",@progbits
	.p2align	6, 0x0
	.amdhsa_kernel _ZN4vllm3moe17topkGatingSoftmaxILi4ELi8ELi4ELi16ELi64ElEEvPKfPKbPfiPT4_Piiii
		.amdhsa_group_segment_fixed_size 4096
		.amdhsa_private_segment_fixed_size 0
		.amdhsa_kernarg_size 60
		.amdhsa_user_sgpr_count 15
		.amdhsa_user_sgpr_dispatch_ptr 1
		.amdhsa_user_sgpr_queue_ptr 0
		.amdhsa_user_sgpr_kernarg_segment_ptr 1
		.amdhsa_user_sgpr_dispatch_id 0
		.amdhsa_user_sgpr_private_segment_size 0
		.amdhsa_wavefront_size32 1
		.amdhsa_uses_dynamic_stack 0
		.amdhsa_enable_private_segment 0
		.amdhsa_system_sgpr_workgroup_id_x 1
		.amdhsa_system_sgpr_workgroup_id_y 0
		.amdhsa_system_sgpr_workgroup_id_z 0
		.amdhsa_system_sgpr_workgroup_info 0
		.amdhsa_system_vgpr_workitem_id 2
		.amdhsa_next_free_vgpr 22
		.amdhsa_next_free_sgpr 16
		.amdhsa_reserve_vcc 1
		.amdhsa_float_round_mode_32 0
		.amdhsa_float_round_mode_16_64 0
		.amdhsa_float_denorm_mode_32 3
		.amdhsa_float_denorm_mode_16_64 3
		.amdhsa_dx10_clamp 1
		.amdhsa_ieee_mode 1
		.amdhsa_fp16_overflow 0
		.amdhsa_workgroup_processor_mode 1
		.amdhsa_memory_ordered 1
		.amdhsa_forward_progress 0
		.amdhsa_shared_vgpr_count 0
		.amdhsa_exception_fp_ieee_invalid_op 0
		.amdhsa_exception_fp_denorm_src 0
		.amdhsa_exception_fp_ieee_div_zero 0
		.amdhsa_exception_fp_ieee_overflow 0
		.amdhsa_exception_fp_ieee_underflow 0
		.amdhsa_exception_fp_ieee_inexact 0
		.amdhsa_exception_int_div_zero 0
	.end_amdhsa_kernel
	.section	.text._ZN4vllm3moe17topkGatingSoftmaxILi4ELi8ELi4ELi16ELi64ElEEvPKfPKbPfiPT4_Piiii,"axG",@progbits,_ZN4vllm3moe17topkGatingSoftmaxILi4ELi8ELi4ELi16ELi64ElEEvPKfPKbPfiPT4_Piiii,comdat
.Lfunc_end51:
	.size	_ZN4vllm3moe17topkGatingSoftmaxILi4ELi8ELi4ELi16ELi64ElEEvPKfPKbPfiPT4_Piiii, .Lfunc_end51-_ZN4vllm3moe17topkGatingSoftmaxILi4ELi8ELi4ELi16ELi64ElEEvPKfPKbPfiPT4_Piiii
                                        ; -- End function
	.section	.AMDGPU.csdata,"",@progbits
; Kernel info:
; codeLenInByte = 1588
; NumSgprs: 18
; NumVgprs: 22
; ScratchSize: 0
; MemoryBound: 0
; FloatMode: 240
; IeeeMode: 1
; LDSByteSize: 4096 bytes/workgroup (compile time only)
; SGPRBlocks: 2
; VGPRBlocks: 2
; NumSGPRsForWavesPerEU: 18
; NumVGPRsForWavesPerEU: 22
; Occupancy: 16
; WaveLimiterHint : 0
; COMPUTE_PGM_RSRC2:SCRATCH_EN: 0
; COMPUTE_PGM_RSRC2:USER_SGPR: 15
; COMPUTE_PGM_RSRC2:TRAP_HANDLER: 0
; COMPUTE_PGM_RSRC2:TGID_X_EN: 1
; COMPUTE_PGM_RSRC2:TGID_Y_EN: 0
; COMPUTE_PGM_RSRC2:TGID_Z_EN: 0
; COMPUTE_PGM_RSRC2:TIDIG_COMP_CNT: 2
	.section	.text._ZN4vllm3moe17topkGatingSoftmaxILi4ELi8ELi4ELi16ELi32ElEEvPKfPKbPfiPT4_Piiii,"axG",@progbits,_ZN4vllm3moe17topkGatingSoftmaxILi4ELi8ELi4ELi16ELi32ElEEvPKfPKbPfiPT4_Piiii,comdat
	.protected	_ZN4vllm3moe17topkGatingSoftmaxILi4ELi8ELi4ELi16ELi32ElEEvPKfPKbPfiPT4_Piiii ; -- Begin function _ZN4vllm3moe17topkGatingSoftmaxILi4ELi8ELi4ELi16ELi32ElEEvPKfPKbPfiPT4_Piiii
	.globl	_ZN4vllm3moe17topkGatingSoftmaxILi4ELi8ELi4ELi16ELi32ElEEvPKfPKbPfiPT4_Piiii
	.p2align	8
	.type	_ZN4vllm3moe17topkGatingSoftmaxILi4ELi8ELi4ELi16ELi32ElEEvPKfPKbPfiPT4_Piiii,@function
_ZN4vllm3moe17topkGatingSoftmaxILi4ELi8ELi4ELi16ELi32ElEEvPKfPKbPfiPT4_Piiii: ; @_ZN4vllm3moe17topkGatingSoftmaxILi4ELi8ELi4ELi16ELi32ElEEvPKfPKbPfiPT4_Piiii
; %bb.0:
	s_load_b32 s14, s[2:3], 0x18
	v_bfe_u32 v5, v0, 10, 10
	v_and_b32_e32 v4, 0x3ff, v0
	s_lshl_b32 s4, s15, 6
	s_delay_alu instid0(VALU_DEP_2) | instskip(NEXT) | instid1(VALU_DEP_2)
	v_lshlrev_b32_e32 v1, 4, v5
	v_lshrrev_b32_e32 v2, 1, v4
	s_delay_alu instid0(VALU_DEP_1) | instskip(SKIP_2) | instid1(VALU_DEP_1)
	v_add3_u32 v1, s4, v1, v2
	s_mov_b32 s4, exec_lo
	s_waitcnt lgkmcnt(0)
	v_cmpx_gt_i32_e64 s14, v1
	s_cbranch_execz .LBB52_14
; %bb.1:
	s_clause 0x1
	s_load_b128 s[4:7], s[2:3], 0x0
	s_load_b64 s[12:13], s[2:3], 0x10
	s_mov_b32 s15, -1
	s_waitcnt lgkmcnt(0)
	s_cmp_eq_u64 s[6:7], 0
	s_cbranch_scc1 .LBB52_3
; %bb.2:
	v_ashrrev_i32_e32 v3, 31, v1
	v_add_co_u32 v2, vcc_lo, s6, v1
	s_delay_alu instid0(VALU_DEP_2) | instskip(SKIP_3) | instid1(VALU_DEP_1)
	v_add_co_ci_u32_e32 v3, vcc_lo, s7, v3, vcc_lo
	global_load_u8 v2, v[2:3], off
	s_waitcnt vmcnt(0)
	v_and_b32_e32 v2, 1, v2
	v_cmp_eq_u32_e32 vcc_lo, 1, v2
	s_xor_b32 s6, vcc_lo, -1
	s_delay_alu instid0(SALU_CYCLE_1)
	s_or_not1_b32 s15, s6, exec_lo
.LBB52_3:
	v_lshlrev_b32_e32 v6, 3, v1
	v_and_b32_e32 v2, 1, v4
	s_load_b64 s[0:1], s[0:1], 0x4
	v_bfe_u32 v0, v0, 20, 10
	s_delay_alu instid0(VALU_DEP_3) | instskip(NEXT) | instid1(VALU_DEP_3)
	v_ashrrev_i32_e32 v7, 31, v6
	v_lshlrev_b32_e32 v3, 4, v2
	s_delay_alu instid0(VALU_DEP_2) | instskip(NEXT) | instid1(VALU_DEP_1)
	v_lshlrev_b64 v[6:7], 2, v[6:7]
	v_add_co_u32 v6, vcc_lo, s4, v6
	s_delay_alu instid0(VALU_DEP_2) | instskip(SKIP_1) | instid1(VALU_DEP_2)
	v_add_co_ci_u32_e32 v7, vcc_lo, s5, v7, vcc_lo
	s_load_b128 s[4:7], s[2:3], 0x30
	v_add_co_u32 v6, vcc_lo, v6, v3
	s_delay_alu instid0(VALU_DEP_2)
	v_add_co_ci_u32_e32 v7, vcc_lo, 0, v7, vcc_lo
	v_mbcnt_lo_u32_b32 v3, -1, 0
	s_waitcnt lgkmcnt(0)
	v_mul_u32_u24_e32 v5, s1, v5
	s_lshr_b32 s0, s0, 16
	global_load_b128 v[6:9], v[6:7], off
	s_mul_i32 s0, s0, s1
	v_and_b32_e32 v10, 30, v3
	v_xor_b32_e32 v11, 1, v3
	v_mad_u32_u24 v4, s0, v4, v5
	s_mov_b32 s7, 0
	s_delay_alu instid0(VALU_DEP_3) | instskip(NEXT) | instid1(VALU_DEP_2)
	v_add_nc_u32_e32 v10, 2, v10
	v_add_lshl_u32 v0, v4, v0, 4
	s_delay_alu instid0(VALU_DEP_2) | instskip(SKIP_2) | instid1(VALU_DEP_1)
	v_cmp_lt_i32_e32 vcc_lo, v11, v10
	s_cmp_lt_i32 s4, 1
	v_cndmask_b32_e32 v3, v3, v11, vcc_lo
	v_lshlrev_b32_e32 v3, 2, v3
	s_waitcnt vmcnt(0)
	v_dual_max_f32 v12, v7, v7 :: v_dual_max_f32 v13, v6, v6
	s_delay_alu instid0(VALU_DEP_1) | instskip(NEXT) | instid1(VALU_DEP_1)
	v_max_f32_e32 v10, v13, v12
	v_max3_f32 v10, v10, v8, v9
	ds_bpermute_b32 v11, v3, v10
	s_waitcnt lgkmcnt(0)
	v_max_f32_e32 v11, v11, v11
	s_delay_alu instid0(VALU_DEP_1) | instskip(NEXT) | instid1(VALU_DEP_1)
	v_max_f32_e32 v10, v10, v11
	v_sub_f32_e32 v7, v7, v10
	s_delay_alu instid0(VALU_DEP_1) | instskip(NEXT) | instid1(VALU_DEP_1)
	v_mul_f32_e32 v11, 0x3fb8aa3b, v7
	v_rndne_f32_e32 v17, v11
	v_fma_f32 v16, 0x3fb8aa3b, v7, -v11
	s_delay_alu instid0(VALU_DEP_2) | instskip(SKIP_1) | instid1(VALU_DEP_1)
	v_sub_f32_e32 v11, v11, v17
	v_sub_f32_e32 v9, v9, v10
	v_dual_sub_f32 v8, v8, v10 :: v_dual_mul_f32 v13, 0x3fb8aa3b, v9
	s_delay_alu instid0(VALU_DEP_1) | instskip(SKIP_1) | instid1(VALU_DEP_3)
	v_mul_f32_e32 v12, 0x3fb8aa3b, v8
	v_fmac_f32_e32 v16, 0x32a5705f, v7
	v_rndne_f32_e32 v21, v13
	v_sub_f32_e32 v6, v6, v10
	v_fma_f32 v20, 0x3fb8aa3b, v9, -v13
	s_delay_alu instid0(VALU_DEP_4) | instskip(SKIP_1) | instid1(VALU_DEP_4)
	v_add_f32_e32 v11, v11, v16
	v_fma_f32 v18, 0x3fb8aa3b, v8, -v12
	v_dual_sub_f32 v13, v13, v21 :: v_dual_mul_f32 v10, 0x3fb8aa3b, v6
	v_rndne_f32_e32 v19, v12
	s_delay_alu instid0(VALU_DEP_4)
	v_exp_f32_e32 v11, v11
	v_cmp_ngt_f32_e32 vcc_lo, 0xc2ce8ed0, v6
	v_fmac_f32_e32 v18, 0x32a5705f, v8
	v_fma_f32 v14, 0x3fb8aa3b, v6, -v10
	v_rndne_f32_e32 v15, v10
	v_sub_f32_e32 v12, v12, v19
	v_cvt_i32_f32_e32 v16, v19
	s_delay_alu instid0(VALU_DEP_4) | instskip(NEXT) | instid1(VALU_DEP_4)
	v_fmac_f32_e32 v14, 0x32a5705f, v6
	v_sub_f32_e32 v10, v10, v15
	v_fmac_f32_e32 v20, 0x32a5705f, v9
	s_delay_alu instid0(VALU_DEP_2) | instskip(SKIP_2) | instid1(VALU_DEP_4)
	v_add_f32_e32 v10, v10, v14
	v_cvt_i32_f32_e32 v14, v15
	v_cvt_i32_f32_e32 v15, v17
	v_add_f32_e32 v13, v13, v20
	v_cvt_i32_f32_e32 v17, v21
	v_exp_f32_e32 v10, v10
	s_delay_alu instid0(VALU_DEP_3) | instskip(NEXT) | instid1(VALU_DEP_3)
	v_ldexp_f32 v11, v11, v15
	v_exp_f32_e32 v13, v13
	s_waitcnt_depctr 0xfff
	v_ldexp_f32 v10, v10, v14
	v_ldexp_f32 v13, v13, v17
	s_delay_alu instid0(VALU_DEP_2) | instskip(SKIP_3) | instid1(VALU_DEP_2)
	v_cndmask_b32_e32 v10, 0, v10, vcc_lo
	v_cmp_ngt_f32_e32 vcc_lo, 0xc2ce8ed0, v7
	v_dual_cndmask_b32 v11, 0, v11 :: v_dual_add_f32 v12, v12, v18
	v_cmp_ngt_f32_e32 vcc_lo, 0xc2ce8ed0, v8
	v_exp_f32_e32 v12, v12
	s_waitcnt_depctr 0xfff
	v_ldexp_f32 v12, v12, v16
	s_delay_alu instid0(VALU_DEP_1)
	v_cndmask_b32_e32 v12, 0, v12, vcc_lo
	v_cmp_nlt_f32_e32 vcc_lo, 0x42b17218, v6
	v_cndmask_b32_e32 v6, 0x7f800000, v10, vcc_lo
	v_cmp_nlt_f32_e32 vcc_lo, 0x42b17218, v7
	v_cndmask_b32_e32 v7, 0x7f800000, v11, vcc_lo
	v_cmp_ngt_f32_e32 vcc_lo, 0xc2ce8ed0, v9
	s_delay_alu instid0(VALU_DEP_2) | instskip(SKIP_3) | instid1(VALU_DEP_2)
	v_dual_add_f32 v11, v6, v7 :: v_dual_cndmask_b32 v10, 0, v13
	v_cmp_nlt_f32_e32 vcc_lo, 0x42b17218, v8
	v_cndmask_b32_e32 v8, 0x7f800000, v12, vcc_lo
	v_cmp_nlt_f32_e32 vcc_lo, 0x42b17218, v9
	v_dual_cndmask_b32 v9, 0x7f800000, v10 :: v_dual_add_f32 v10, v11, v8
	s_delay_alu instid0(VALU_DEP_1) | instskip(SKIP_3) | instid1(VALU_DEP_1)
	v_add_f32_e32 v10, v10, v9
	ds_bpermute_b32 v11, v3, v10
	s_waitcnt lgkmcnt(0)
	v_add_f32_e32 v10, v10, v11
	v_div_scale_f32 v11, null, v10, v10, 1.0
	v_div_scale_f32 v14, vcc_lo, 1.0, v10, 1.0
	s_delay_alu instid0(VALU_DEP_2) | instskip(SKIP_2) | instid1(VALU_DEP_1)
	v_rcp_f32_e32 v12, v11
	s_waitcnt_depctr 0xfff
	v_fma_f32 v13, -v11, v12, 1.0
	v_fmac_f32_e32 v12, v13, v12
	s_delay_alu instid0(VALU_DEP_1) | instskip(NEXT) | instid1(VALU_DEP_1)
	v_mul_f32_e32 v13, v14, v12
	v_fma_f32 v15, -v11, v13, v14
	s_delay_alu instid0(VALU_DEP_1) | instskip(NEXT) | instid1(VALU_DEP_1)
	v_fmac_f32_e32 v13, v15, v12
	v_fma_f32 v11, -v11, v13, v14
	s_delay_alu instid0(VALU_DEP_1) | instskip(NEXT) | instid1(VALU_DEP_1)
	v_div_fmas_f32 v11, v11, v12, v13
	v_div_fixup_f32 v10, v11, v10, 1.0
	s_delay_alu instid0(VALU_DEP_1)
	v_mul_f32_e32 v5, v10, v7
	v_mul_f32_e32 v7, v10, v9
	;; [unrolled: 1-line block ×4, first 2 shown]
	ds_store_b128 v0, v[4:7]
	s_cbranch_scc1 .LBB52_14
; %bb.4:
	s_load_b128 s[8:11], s[2:3], 0x20
	v_mul_lo_u32 v4, v1, s4
	v_dual_mov_b32 v6, 0xc61c4000 :: v_dual_lshlrev_b32 v5, 2, v2
	v_cmp_eq_u32_e32 vcc_lo, 0, v2
	s_branch .LBB52_6
.LBB52_5:                               ;   in Loop: Header=BB52_6 Depth=1
	s_or_b32 exec_lo, exec_lo, s0
	v_add_nc_u32_e32 v1, s14, v1
	s_cmp_lg_u32 s4, s7
	s_cbranch_scc0 .LBB52_14
.LBB52_6:                               ; =>This Inner Loop Header: Depth=1
	ds_load_b128 v[7:10], v0
	s_mov_b32 s3, exec_lo
	s_waitcnt lgkmcnt(0)
	v_cmp_gt_f32_e64 s0, v8, v7
	s_delay_alu instid0(VALU_DEP_1) | instskip(SKIP_1) | instid1(VALU_DEP_2)
	v_cndmask_b32_e64 v7, v7, v8, s0
	v_cndmask_b32_e64 v8, 0, 1, s0
	v_cmp_gt_f32_e64 s0, v9, v7
	s_delay_alu instid0(VALU_DEP_1) | instskip(NEXT) | instid1(VALU_DEP_3)
	v_cndmask_b32_e64 v7, v7, v9, s0
	v_cndmask_b32_e64 v9, v8, 2, s0
	s_delay_alu instid0(VALU_DEP_2) | instskip(NEXT) | instid1(VALU_DEP_1)
	v_cmp_gt_f32_e64 s0, v10, v7
	v_cndmask_b32_e64 v8, v7, v10, s0
	s_delay_alu instid0(VALU_DEP_3)
	v_cndmask_b32_e64 v7, v9, 3, s0
	ds_bpermute_b32 v9, v3, v8
	v_or_b32_e32 v7, v5, v7
	ds_bpermute_b32 v10, v3, v7
	s_waitcnt lgkmcnt(1)
	v_cmp_lt_f32_e64 s2, v8, v9
	v_cmpx_nlt_f32_e32 v8, v9
	s_cbranch_execnz .LBB52_12
; %bb.7:                                ;   in Loop: Header=BB52_6 Depth=1
	s_or_b32 exec_lo, exec_lo, s3
	s_delay_alu instid0(VALU_DEP_2)
	s_and_saveexec_b32 s0, s2
	s_cbranch_execnz .LBB52_13
.LBB52_8:                               ;   in Loop: Header=BB52_6 Depth=1
	s_or_b32 exec_lo, exec_lo, s0
	s_and_saveexec_b32 s2, vcc_lo
	s_cbranch_execz .LBB52_10
.LBB52_9:                               ;   in Loop: Header=BB52_6 Depth=1
	v_add_nc_u32_e32 v9, s7, v4
	v_subrev_nc_u32_e32 v13, s5, v7
	v_cmp_le_i32_e64 s0, s5, v7
	v_cmp_gt_i32_e64 s1, s6, v7
	s_waitcnt lgkmcnt(0)
	v_ashrrev_i32_e32 v10, 31, v9
	v_ashrrev_i32_e32 v14, 31, v13
	s_delay_alu instid0(VALU_DEP_3) | instskip(NEXT) | instid1(SALU_CYCLE_1)
	s_and_b32 s0, s0, s1
	s_and_b32 s0, s15, s0
	s_delay_alu instid0(VALU_DEP_2) | instskip(SKIP_3) | instid1(VALU_DEP_4)
	v_lshlrev_b64 v[11:12], 2, v[9:10]
	v_lshlrev_b64 v[9:10], 3, v[9:10]
	v_cndmask_b32_e64 v14, 0, v14, s0
	v_cndmask_b32_e64 v13, 8, v13, s0
	v_add_co_u32 v15, s0, s12, v11
	s_delay_alu instid0(VALU_DEP_1) | instskip(SKIP_1) | instid1(VALU_DEP_1)
	v_add_co_ci_u32_e64 v16, s0, s13, v12, s0
	v_add_co_u32 v9, s0, s8, v9
	v_add_co_ci_u32_e64 v10, s0, s9, v10, s0
	v_add_co_u32 v11, s0, s10, v11
	s_delay_alu instid0(VALU_DEP_1)
	v_add_co_ci_u32_e64 v12, s0, s11, v12, s0
	global_store_b32 v[15:16], v8, off
	global_store_b64 v[9:10], v[13:14], off
	global_store_b32 v[11:12], v1, off
.LBB52_10:                              ;   in Loop: Header=BB52_6 Depth=1
	s_or_b32 exec_lo, exec_lo, s2
	v_ashrrev_i32_e32 v8, 31, v7
	s_add_i32 s7, s7, 1
	s_delay_alu instid0(SALU_CYCLE_1) | instskip(SKIP_1) | instid1(VALU_DEP_1)
	s_cmp_lt_i32 s7, s4
	s_cselect_b32 s1, -1, 0
	v_lshrrev_b32_e32 v9, 30, v8
	s_waitcnt lgkmcnt(0)
	s_delay_alu instid0(VALU_DEP_1) | instskip(NEXT) | instid1(VALU_DEP_1)
	v_add_nc_u32_e32 v10, v7, v9
	v_ashrrev_i32_e32 v9, 2, v10
	v_lshrrev_b32_e32 v10, 31, v10
	s_delay_alu instid0(VALU_DEP_1) | instskip(NEXT) | instid1(VALU_DEP_1)
	v_add_nc_u32_e32 v10, v9, v10
	v_and_b32_e32 v10, -2, v10
	s_delay_alu instid0(VALU_DEP_1) | instskip(NEXT) | instid1(VALU_DEP_1)
	v_sub_nc_u32_e32 v10, v9, v10
	v_cmp_eq_u32_e64 s0, v2, v10
	s_delay_alu instid0(VALU_DEP_1) | instskip(NEXT) | instid1(SALU_CYCLE_1)
	s_and_b32 s1, s1, s0
	s_and_saveexec_b32 s0, s1
	s_cbranch_execz .LBB52_5
; %bb.11:                               ;   in Loop: Header=BB52_6 Depth=1
	v_lshrrev_b32_e32 v8, 29, v8
	v_lshlrev_b32_e32 v9, 2, v9
	s_delay_alu instid0(VALU_DEP_2) | instskip(NEXT) | instid1(VALU_DEP_2)
	v_add_nc_u32_e32 v8, v7, v8
	v_sub_nc_u32_e32 v7, v7, v9
	s_delay_alu instid0(VALU_DEP_2) | instskip(NEXT) | instid1(VALU_DEP_1)
	v_lshrrev_b32_e32 v8, 1, v8
	v_and_b32_e32 v8, 0x7ffffffc, v8
	s_delay_alu instid0(VALU_DEP_1) | instskip(NEXT) | instid1(VALU_DEP_1)
	v_add_nc_u32_e32 v7, v8, v7
	v_lshl_add_u32 v7, v7, 2, v0
	ds_store_b32 v7, v6
	s_branch .LBB52_5
.LBB52_12:                              ;   in Loop: Header=BB52_6 Depth=1
	v_cmp_eq_f32_e64 s0, v8, v9
	s_waitcnt lgkmcnt(0)
	v_cmp_lt_i32_e64 s1, v10, v7
	s_delay_alu instid0(VALU_DEP_1) | instskip(SKIP_2) | instid1(SALU_CYCLE_1)
	s_and_b32 s0, s0, s1
	s_and_not1_b32 s1, s2, exec_lo
	s_and_b32 s0, s0, exec_lo
	s_or_b32 s2, s1, s0
	s_or_b32 exec_lo, exec_lo, s3
	s_and_saveexec_b32 s0, s2
	s_cbranch_execz .LBB52_8
.LBB52_13:                              ;   in Loop: Header=BB52_6 Depth=1
	s_waitcnt lgkmcnt(0)
	v_dual_mov_b32 v8, v9 :: v_dual_mov_b32 v7, v10
	s_or_b32 exec_lo, exec_lo, s0
	s_and_saveexec_b32 s2, vcc_lo
	s_cbranch_execnz .LBB52_9
	s_branch .LBB52_10
.LBB52_14:
	s_nop 0
	s_sendmsg sendmsg(MSG_DEALLOC_VGPRS)
	s_endpgm
	.section	.rodata,"a",@progbits
	.p2align	6, 0x0
	.amdhsa_kernel _ZN4vllm3moe17topkGatingSoftmaxILi4ELi8ELi4ELi16ELi32ElEEvPKfPKbPfiPT4_Piiii
		.amdhsa_group_segment_fixed_size 2048
		.amdhsa_private_segment_fixed_size 0
		.amdhsa_kernarg_size 60
		.amdhsa_user_sgpr_count 15
		.amdhsa_user_sgpr_dispatch_ptr 1
		.amdhsa_user_sgpr_queue_ptr 0
		.amdhsa_user_sgpr_kernarg_segment_ptr 1
		.amdhsa_user_sgpr_dispatch_id 0
		.amdhsa_user_sgpr_private_segment_size 0
		.amdhsa_wavefront_size32 1
		.amdhsa_uses_dynamic_stack 0
		.amdhsa_enable_private_segment 0
		.amdhsa_system_sgpr_workgroup_id_x 1
		.amdhsa_system_sgpr_workgroup_id_y 0
		.amdhsa_system_sgpr_workgroup_id_z 0
		.amdhsa_system_sgpr_workgroup_info 0
		.amdhsa_system_vgpr_workitem_id 2
		.amdhsa_next_free_vgpr 22
		.amdhsa_next_free_sgpr 16
		.amdhsa_reserve_vcc 1
		.amdhsa_float_round_mode_32 0
		.amdhsa_float_round_mode_16_64 0
		.amdhsa_float_denorm_mode_32 3
		.amdhsa_float_denorm_mode_16_64 3
		.amdhsa_dx10_clamp 1
		.amdhsa_ieee_mode 1
		.amdhsa_fp16_overflow 0
		.amdhsa_workgroup_processor_mode 1
		.amdhsa_memory_ordered 1
		.amdhsa_forward_progress 0
		.amdhsa_shared_vgpr_count 0
		.amdhsa_exception_fp_ieee_invalid_op 0
		.amdhsa_exception_fp_denorm_src 0
		.amdhsa_exception_fp_ieee_div_zero 0
		.amdhsa_exception_fp_ieee_overflow 0
		.amdhsa_exception_fp_ieee_underflow 0
		.amdhsa_exception_fp_ieee_inexact 0
		.amdhsa_exception_int_div_zero 0
	.end_amdhsa_kernel
	.section	.text._ZN4vllm3moe17topkGatingSoftmaxILi4ELi8ELi4ELi16ELi32ElEEvPKfPKbPfiPT4_Piiii,"axG",@progbits,_ZN4vllm3moe17topkGatingSoftmaxILi4ELi8ELi4ELi16ELi32ElEEvPKfPKbPfiPT4_Piiii,comdat
.Lfunc_end52:
	.size	_ZN4vllm3moe17topkGatingSoftmaxILi4ELi8ELi4ELi16ELi32ElEEvPKfPKbPfiPT4_Piiii, .Lfunc_end52-_ZN4vllm3moe17topkGatingSoftmaxILi4ELi8ELi4ELi16ELi32ElEEvPKfPKbPfiPT4_Piiii
                                        ; -- End function
	.section	.AMDGPU.csdata,"",@progbits
; Kernel info:
; codeLenInByte = 1584
; NumSgprs: 18
; NumVgprs: 22
; ScratchSize: 0
; MemoryBound: 0
; FloatMode: 240
; IeeeMode: 1
; LDSByteSize: 2048 bytes/workgroup (compile time only)
; SGPRBlocks: 2
; VGPRBlocks: 2
; NumSGPRsForWavesPerEU: 18
; NumVGPRsForWavesPerEU: 22
; Occupancy: 16
; WaveLimiterHint : 0
; COMPUTE_PGM_RSRC2:SCRATCH_EN: 0
; COMPUTE_PGM_RSRC2:USER_SGPR: 15
; COMPUTE_PGM_RSRC2:TRAP_HANDLER: 0
; COMPUTE_PGM_RSRC2:TGID_X_EN: 1
; COMPUTE_PGM_RSRC2:TGID_Y_EN: 0
; COMPUTE_PGM_RSRC2:TGID_Z_EN: 0
; COMPUTE_PGM_RSRC2:TIDIG_COMP_CNT: 2
	.section	.text._ZN4vllm3moe17topkGatingSoftmaxILi4ELi16ELi4ELi16ELi64ElEEvPKfPKbPfiPT4_Piiii,"axG",@progbits,_ZN4vllm3moe17topkGatingSoftmaxILi4ELi16ELi4ELi16ELi64ElEEvPKfPKbPfiPT4_Piiii,comdat
	.protected	_ZN4vllm3moe17topkGatingSoftmaxILi4ELi16ELi4ELi16ELi64ElEEvPKfPKbPfiPT4_Piiii ; -- Begin function _ZN4vllm3moe17topkGatingSoftmaxILi4ELi16ELi4ELi16ELi64ElEEvPKfPKbPfiPT4_Piiii
	.globl	_ZN4vllm3moe17topkGatingSoftmaxILi4ELi16ELi4ELi16ELi64ElEEvPKfPKbPfiPT4_Piiii
	.p2align	8
	.type	_ZN4vllm3moe17topkGatingSoftmaxILi4ELi16ELi4ELi16ELi64ElEEvPKfPKbPfiPT4_Piiii,@function
_ZN4vllm3moe17topkGatingSoftmaxILi4ELi16ELi4ELi16ELi64ElEEvPKfPKbPfiPT4_Piiii: ; @_ZN4vllm3moe17topkGatingSoftmaxILi4ELi16ELi4ELi16ELi64ElEEvPKfPKbPfiPT4_Piiii
; %bb.0:
	s_load_b32 s14, s[2:3], 0x18
	v_bfe_u32 v5, v0, 10, 10
	v_and_b32_e32 v6, 0x3ff, v0
	s_lshl_b32 s4, s15, 6
	s_delay_alu instid0(VALU_DEP_2) | instskip(NEXT) | instid1(VALU_DEP_2)
	v_lshlrev_b32_e32 v1, 4, v5
	v_lshrrev_b32_e32 v2, 2, v6
	s_delay_alu instid0(VALU_DEP_1) | instskip(SKIP_2) | instid1(VALU_DEP_1)
	v_add3_u32 v1, s4, v1, v2
	s_mov_b32 s4, exec_lo
	s_waitcnt lgkmcnt(0)
	v_cmpx_gt_i32_e64 s14, v1
	s_cbranch_execz .LBB53_18
; %bb.1:
	s_clause 0x1
	s_load_b128 s[4:7], s[2:3], 0x0
	s_load_b64 s[12:13], s[2:3], 0x10
	s_mov_b32 s15, -1
	s_waitcnt lgkmcnt(0)
	s_cmp_eq_u64 s[6:7], 0
	s_cbranch_scc1 .LBB53_3
; %bb.2:
	v_ashrrev_i32_e32 v3, 31, v1
	v_add_co_u32 v2, vcc_lo, s6, v1
	s_delay_alu instid0(VALU_DEP_2) | instskip(SKIP_3) | instid1(VALU_DEP_1)
	v_add_co_ci_u32_e32 v3, vcc_lo, s7, v3, vcc_lo
	global_load_u8 v2, v[2:3], off
	s_waitcnt vmcnt(0)
	v_and_b32_e32 v2, 1, v2
	v_cmp_eq_u32_e32 vcc_lo, 1, v2
	s_xor_b32 s6, vcc_lo, -1
	s_delay_alu instid0(SALU_CYCLE_1)
	s_or_not1_b32 s15, s6, exec_lo
.LBB53_3:
	v_lshlrev_b32_e32 v3, 4, v1
	v_and_b32_e32 v2, 3, v6
	s_load_b64 s[0:1], s[0:1], 0x4
	v_bfe_u32 v0, v0, 20, 10
	s_delay_alu instid0(VALU_DEP_3) | instskip(NEXT) | instid1(VALU_DEP_3)
	v_ashrrev_i32_e32 v4, 31, v3
	v_lshlrev_b32_e32 v7, 4, v2
	s_delay_alu instid0(VALU_DEP_2) | instskip(NEXT) | instid1(VALU_DEP_1)
	v_lshlrev_b64 v[3:4], 2, v[3:4]
	v_add_co_u32 v3, vcc_lo, s4, v3
	s_delay_alu instid0(VALU_DEP_2) | instskip(SKIP_1) | instid1(VALU_DEP_2)
	v_add_co_ci_u32_e32 v4, vcc_lo, s5, v4, vcc_lo
	s_load_b128 s[4:7], s[2:3], 0x30
	v_add_co_u32 v3, vcc_lo, v3, v7
	s_delay_alu instid0(VALU_DEP_2)
	v_add_co_ci_u32_e32 v4, vcc_lo, 0, v4, vcc_lo
	s_waitcnt lgkmcnt(0)
	s_lshr_b32 s0, s0, 16
	s_mov_b32 s7, 0
	s_mul_i32 s0, s0, s1
	global_load_b128 v[7:10], v[3:4], off
	v_mbcnt_lo_u32_b32 v4, -1, 0
	v_mul_lo_u32 v6, s0, v6
	s_delay_alu instid0(VALU_DEP_2) | instskip(SKIP_2) | instid1(VALU_DEP_4)
	v_and_b32_e32 v3, 28, v4
	v_xor_b32_e32 v11, 2, v4
	v_xor_b32_e32 v14, 1, v4
	v_mad_u32_u24 v5, v5, s1, v6
	s_delay_alu instid0(VALU_DEP_4) | instskip(SKIP_1) | instid1(VALU_DEP_2)
	v_add_nc_u32_e32 v12, 4, v3
	s_cmp_lt_i32 s4, 1
	v_add_lshl_u32 v0, v5, v0, 4
	s_delay_alu instid0(VALU_DEP_2) | instskip(SKIP_3) | instid1(VALU_DEP_1)
	v_cmp_lt_i32_e32 vcc_lo, v11, v12
	v_cndmask_b32_e32 v11, v4, v11, vcc_lo
	v_cmp_lt_i32_e32 vcc_lo, v14, v12
	v_cndmask_b32_e32 v4, v4, v14, vcc_lo
	v_lshlrev_b32_e32 v4, 2, v4
	s_waitcnt vmcnt(0)
	v_max_f32_e32 v3, v8, v8
	v_max_f32_e32 v13, v7, v7
	s_delay_alu instid0(VALU_DEP_1) | instskip(SKIP_1) | instid1(VALU_DEP_2)
	v_max_f32_e32 v13, v13, v3
	v_lshlrev_b32_e32 v3, 2, v11
	v_max3_f32 v11, v13, v9, v10
	ds_bpermute_b32 v13, v3, v11
	s_waitcnt lgkmcnt(0)
	v_max_f32_e32 v12, v13, v13
	s_delay_alu instid0(VALU_DEP_1) | instskip(SKIP_3) | instid1(VALU_DEP_1)
	v_max_f32_e32 v11, v11, v12
	ds_bpermute_b32 v12, v4, v11
	s_waitcnt lgkmcnt(0)
	v_max_f32_e32 v12, v12, v12
	v_max_f32_e32 v11, v11, v12
	s_delay_alu instid0(VALU_DEP_1) | instskip(NEXT) | instid1(VALU_DEP_1)
	v_sub_f32_e32 v10, v10, v11
	v_mul_f32_e32 v14, 0x3fb8aa3b, v10
	s_delay_alu instid0(VALU_DEP_1) | instskip(SKIP_1) | instid1(VALU_DEP_2)
	v_rndne_f32_e32 v22, v14
	v_fma_f32 v21, 0x3fb8aa3b, v10, -v14
	v_sub_f32_e32 v14, v14, v22
	s_delay_alu instid0(VALU_DEP_2) | instskip(NEXT) | instid1(VALU_DEP_1)
	v_dual_sub_f32 v8, v8, v11 :: v_dual_fmac_f32 v21, 0x32a5705f, v10
	v_dual_sub_f32 v9, v9, v11 :: v_dual_mul_f32 v12, 0x3fb8aa3b, v8
	s_delay_alu instid0(VALU_DEP_2) | instskip(NEXT) | instid1(VALU_DEP_2)
	v_add_f32_e32 v14, v14, v21
	v_mul_f32_e32 v13, 0x3fb8aa3b, v9
	s_delay_alu instid0(VALU_DEP_3) | instskip(SKIP_1) | instid1(VALU_DEP_3)
	v_fma_f32 v17, 0x3fb8aa3b, v8, -v12
	v_rndne_f32_e32 v18, v12
	v_fma_f32 v19, 0x3fb8aa3b, v9, -v13
	v_rndne_f32_e32 v20, v13
	v_exp_f32_e32 v14, v14
	s_delay_alu instid0(VALU_DEP_3) | instskip(SKIP_2) | instid1(VALU_DEP_3)
	v_dual_fmac_f32 v17, 0x32a5705f, v8 :: v_dual_sub_f32 v12, v12, v18
	v_sub_f32_e32 v7, v7, v11
	v_fmac_f32_e32 v19, 0x32a5705f, v9
	v_dual_sub_f32 v13, v13, v20 :: v_dual_add_f32 v12, v12, v17
	s_delay_alu instid0(VALU_DEP_3) | instskip(SKIP_1) | instid1(VALU_DEP_3)
	v_mul_f32_e32 v11, 0x3fb8aa3b, v7
	v_cmp_ngt_f32_e32 vcc_lo, 0xc2ce8ed0, v7
	v_add_f32_e32 v13, v13, v19
	v_cvt_i32_f32_e32 v17, v20
	v_exp_f32_e32 v12, v12
	v_fma_f32 v15, 0x3fb8aa3b, v7, -v11
	v_rndne_f32_e32 v16, v11
	v_exp_f32_e32 v13, v13
	s_delay_alu instid0(VALU_DEP_2) | instskip(NEXT) | instid1(VALU_DEP_2)
	v_fmac_f32_e32 v15, 0x32a5705f, v7
	v_sub_f32_e32 v11, v11, v16
	s_delay_alu instid0(VALU_DEP_1)
	v_add_f32_e32 v11, v11, v15
	v_cvt_i32_f32_e32 v15, v16
	v_cvt_i32_f32_e32 v16, v18
	s_waitcnt_depctr 0xfff
	v_ldexp_f32 v13, v13, v17
	v_cvt_i32_f32_e32 v18, v22
	v_exp_f32_e32 v11, v11
	v_ldexp_f32 v12, v12, v16
	s_delay_alu instid0(VALU_DEP_2) | instskip(SKIP_2) | instid1(VALU_DEP_1)
	v_ldexp_f32 v14, v14, v18
	s_waitcnt_depctr 0xfff
	v_ldexp_f32 v11, v11, v15
	v_cndmask_b32_e32 v11, 0, v11, vcc_lo
	v_cmp_ngt_f32_e32 vcc_lo, 0xc2ce8ed0, v8
	v_cndmask_b32_e32 v12, 0, v12, vcc_lo
	v_cmp_ngt_f32_e32 vcc_lo, 0xc2ce8ed0, v9
	v_cndmask_b32_e32 v13, 0, v13, vcc_lo
	v_cmp_nlt_f32_e32 vcc_lo, 0x42b17218, v7
	v_cndmask_b32_e32 v7, 0x7f800000, v11, vcc_lo
	v_cmp_nlt_f32_e32 vcc_lo, 0x42b17218, v8
	v_cndmask_b32_e32 v8, 0x7f800000, v12, vcc_lo
	v_cmp_ngt_f32_e32 vcc_lo, 0xc2ce8ed0, v10
	s_delay_alu instid0(VALU_DEP_2) | instskip(SKIP_3) | instid1(VALU_DEP_2)
	v_dual_add_f32 v12, v7, v8 :: v_dual_cndmask_b32 v11, 0, v14
	v_cmp_nlt_f32_e32 vcc_lo, 0x42b17218, v9
	v_cndmask_b32_e32 v9, 0x7f800000, v13, vcc_lo
	v_cmp_nlt_f32_e32 vcc_lo, 0x42b17218, v10
	v_dual_cndmask_b32 v10, 0x7f800000, v11 :: v_dual_add_f32 v11, v12, v9
	s_delay_alu instid0(VALU_DEP_1)
	v_add_f32_e32 v11, v11, v10
	ds_bpermute_b32 v12, v3, v11
	s_waitcnt lgkmcnt(0)
	v_add_f32_e32 v11, v11, v12
	ds_bpermute_b32 v12, v4, v11
	s_waitcnt lgkmcnt(0)
	v_add_f32_e32 v11, v11, v12
	s_delay_alu instid0(VALU_DEP_1) | instskip(SKIP_1) | instid1(VALU_DEP_2)
	v_div_scale_f32 v12, null, v11, v11, 1.0
	v_div_scale_f32 v15, vcc_lo, 1.0, v11, 1.0
	v_rcp_f32_e32 v13, v12
	s_waitcnt_depctr 0xfff
	v_fma_f32 v14, -v12, v13, 1.0
	s_delay_alu instid0(VALU_DEP_1) | instskip(NEXT) | instid1(VALU_DEP_1)
	v_fmac_f32_e32 v13, v14, v13
	v_mul_f32_e32 v14, v15, v13
	s_delay_alu instid0(VALU_DEP_1) | instskip(NEXT) | instid1(VALU_DEP_1)
	v_fma_f32 v16, -v12, v14, v15
	v_fmac_f32_e32 v14, v16, v13
	s_delay_alu instid0(VALU_DEP_1) | instskip(NEXT) | instid1(VALU_DEP_1)
	v_fma_f32 v12, -v12, v14, v15
	v_div_fmas_f32 v12, v12, v13, v14
	s_delay_alu instid0(VALU_DEP_1) | instskip(NEXT) | instid1(VALU_DEP_1)
	v_div_fixup_f32 v11, v12, v11, 1.0
	v_mul_f32_e32 v5, v11, v7
	v_mul_f32_e32 v6, v11, v8
	;; [unrolled: 1-line block ×4, first 2 shown]
	ds_store_b128 v0, v[5:8]
	s_cbranch_scc1 .LBB53_18
; %bb.4:
	s_load_b128 s[8:11], s[2:3], 0x20
	v_mul_lo_u32 v5, v1, s4
	v_dual_mov_b32 v7, 0xc61c4000 :: v_dual_lshlrev_b32 v6, 2, v2
	v_cmp_eq_u32_e32 vcc_lo, 0, v2
	s_branch .LBB53_6
.LBB53_5:                               ;   in Loop: Header=BB53_6 Depth=1
	s_or_b32 exec_lo, exec_lo, s0
	v_add_nc_u32_e32 v1, s14, v1
	s_cmp_lg_u32 s4, s7
	s_cbranch_scc0 .LBB53_18
.LBB53_6:                               ; =>This Inner Loop Header: Depth=1
	ds_load_b128 v[8:11], v0
	s_mov_b32 s3, exec_lo
	s_waitcnt lgkmcnt(0)
	v_cmp_gt_f32_e64 s0, v9, v8
	s_delay_alu instid0(VALU_DEP_1) | instskip(SKIP_1) | instid1(VALU_DEP_2)
	v_cndmask_b32_e64 v8, v8, v9, s0
	v_cndmask_b32_e64 v9, 0, 1, s0
	v_cmp_gt_f32_e64 s0, v10, v8
	s_delay_alu instid0(VALU_DEP_1) | instskip(NEXT) | instid1(VALU_DEP_3)
	v_cndmask_b32_e64 v8, v8, v10, s0
	v_cndmask_b32_e64 v10, v9, 2, s0
	s_delay_alu instid0(VALU_DEP_2) | instskip(NEXT) | instid1(VALU_DEP_1)
	v_cmp_gt_f32_e64 s0, v11, v8
	v_cndmask_b32_e64 v9, v8, v11, s0
	s_delay_alu instid0(VALU_DEP_3)
	v_cndmask_b32_e64 v8, v10, 3, s0
	ds_bpermute_b32 v10, v3, v9
	v_or_b32_e32 v8, v6, v8
	ds_bpermute_b32 v11, v3, v8
	s_waitcnt lgkmcnt(1)
	v_cmp_lt_f32_e64 s2, v9, v10
	v_cmpx_nlt_f32_e32 v9, v10
	s_cbranch_execz .LBB53_8
; %bb.7:                                ;   in Loop: Header=BB53_6 Depth=1
	v_cmp_eq_f32_e64 s0, v9, v10
	s_waitcnt lgkmcnt(0)
	v_cmp_lt_i32_e64 s1, v11, v8
	s_delay_alu instid0(VALU_DEP_1) | instskip(SKIP_2) | instid1(SALU_CYCLE_1)
	s_and_b32 s0, s0, s1
	s_and_not1_b32 s1, s2, exec_lo
	s_and_b32 s0, s0, exec_lo
	s_or_b32 s2, s1, s0
.LBB53_8:                               ;   in Loop: Header=BB53_6 Depth=1
	s_or_b32 exec_lo, exec_lo, s3
	s_delay_alu instid0(VALU_DEP_2)
	s_and_saveexec_b32 s0, s2
	s_cbranch_execz .LBB53_10
; %bb.9:                                ;   in Loop: Header=BB53_6 Depth=1
	s_waitcnt lgkmcnt(0)
	v_dual_mov_b32 v9, v10 :: v_dual_mov_b32 v8, v11
.LBB53_10:                              ;   in Loop: Header=BB53_6 Depth=1
	s_or_b32 exec_lo, exec_lo, s0
	ds_bpermute_b32 v10, v4, v9
	s_waitcnt lgkmcnt(1)
	ds_bpermute_b32 v11, v4, v8
	s_mov_b32 s3, exec_lo
	s_waitcnt lgkmcnt(1)
	v_cmp_lt_f32_e64 s2, v9, v10
	v_cmpx_nlt_f32_e32 v9, v10
	s_cbranch_execnz .LBB53_16
; %bb.11:                               ;   in Loop: Header=BB53_6 Depth=1
	s_or_b32 exec_lo, exec_lo, s3
	s_delay_alu instid0(VALU_DEP_2)
	s_and_saveexec_b32 s0, s2
	s_cbranch_execnz .LBB53_17
.LBB53_12:                              ;   in Loop: Header=BB53_6 Depth=1
	s_or_b32 exec_lo, exec_lo, s0
	s_and_saveexec_b32 s2, vcc_lo
	s_cbranch_execz .LBB53_14
.LBB53_13:                              ;   in Loop: Header=BB53_6 Depth=1
	v_add_nc_u32_e32 v10, s7, v5
	v_subrev_nc_u32_e32 v14, s5, v8
	v_cmp_le_i32_e64 s0, s5, v8
	v_cmp_gt_i32_e64 s1, s6, v8
	s_waitcnt lgkmcnt(0)
	v_ashrrev_i32_e32 v11, 31, v10
	v_ashrrev_i32_e32 v15, 31, v14
	s_delay_alu instid0(VALU_DEP_3) | instskip(NEXT) | instid1(SALU_CYCLE_1)
	s_and_b32 s0, s0, s1
	s_and_b32 s0, s15, s0
	s_delay_alu instid0(VALU_DEP_2) | instskip(SKIP_3) | instid1(VALU_DEP_4)
	v_lshlrev_b64 v[12:13], 2, v[10:11]
	v_lshlrev_b64 v[10:11], 3, v[10:11]
	v_cndmask_b32_e64 v15, 0, v15, s0
	v_cndmask_b32_e64 v14, 16, v14, s0
	v_add_co_u32 v16, s0, s12, v12
	s_delay_alu instid0(VALU_DEP_1) | instskip(SKIP_1) | instid1(VALU_DEP_1)
	v_add_co_ci_u32_e64 v17, s0, s13, v13, s0
	v_add_co_u32 v10, s0, s8, v10
	v_add_co_ci_u32_e64 v11, s0, s9, v11, s0
	v_add_co_u32 v12, s0, s10, v12
	s_delay_alu instid0(VALU_DEP_1)
	v_add_co_ci_u32_e64 v13, s0, s11, v13, s0
	global_store_b32 v[16:17], v9, off
	global_store_b64 v[10:11], v[14:15], off
	global_store_b32 v[12:13], v1, off
.LBB53_14:                              ;   in Loop: Header=BB53_6 Depth=1
	s_or_b32 exec_lo, exec_lo, s2
	v_ashrrev_i32_e32 v9, 31, v8
	s_add_i32 s7, s7, 1
	s_delay_alu instid0(SALU_CYCLE_1) | instskip(SKIP_1) | instid1(VALU_DEP_1)
	s_cmp_lt_i32 s7, s4
	s_cselect_b32 s1, -1, 0
	v_lshrrev_b32_e32 v10, 30, v9
	s_delay_alu instid0(VALU_DEP_1) | instskip(NEXT) | instid1(VALU_DEP_1)
	v_add_nc_u32_e32 v10, v8, v10
	v_ashrrev_i32_e32 v10, 2, v10
	s_waitcnt lgkmcnt(0)
	s_delay_alu instid0(VALU_DEP_1) | instskip(NEXT) | instid1(VALU_DEP_1)
	v_lshrrev_b32_e32 v11, 30, v10
	v_add_nc_u32_e32 v11, v10, v11
	s_delay_alu instid0(VALU_DEP_1) | instskip(NEXT) | instid1(VALU_DEP_1)
	v_and_b32_e32 v11, -4, v11
	v_sub_nc_u32_e32 v11, v10, v11
	s_delay_alu instid0(VALU_DEP_1) | instskip(NEXT) | instid1(VALU_DEP_1)
	v_cmp_eq_u32_e64 s0, v2, v11
	s_and_b32 s1, s1, s0
	s_delay_alu instid0(SALU_CYCLE_1)
	s_and_saveexec_b32 s0, s1
	s_cbranch_execz .LBB53_5
; %bb.15:                               ;   in Loop: Header=BB53_6 Depth=1
	v_lshrrev_b32_e32 v9, 28, v9
	v_lshlrev_b32_e32 v10, 2, v10
	s_delay_alu instid0(VALU_DEP_2) | instskip(NEXT) | instid1(VALU_DEP_2)
	v_add_nc_u32_e32 v9, v8, v9
	v_sub_nc_u32_e32 v8, v8, v10
	s_delay_alu instid0(VALU_DEP_2) | instskip(NEXT) | instid1(VALU_DEP_1)
	v_lshrrev_b32_e32 v9, 2, v9
	v_and_b32_e32 v9, 0x3ffffffc, v9
	s_delay_alu instid0(VALU_DEP_1) | instskip(NEXT) | instid1(VALU_DEP_1)
	v_add_nc_u32_e32 v8, v9, v8
	v_lshl_add_u32 v8, v8, 2, v0
	ds_store_b32 v8, v7
	s_branch .LBB53_5
.LBB53_16:                              ;   in Loop: Header=BB53_6 Depth=1
	v_cmp_eq_f32_e64 s0, v9, v10
	s_waitcnt lgkmcnt(0)
	v_cmp_lt_i32_e64 s1, v11, v8
	s_delay_alu instid0(VALU_DEP_1) | instskip(SKIP_2) | instid1(SALU_CYCLE_1)
	s_and_b32 s0, s0, s1
	s_and_not1_b32 s1, s2, exec_lo
	s_and_b32 s0, s0, exec_lo
	s_or_b32 s2, s1, s0
	s_or_b32 exec_lo, exec_lo, s3
	s_and_saveexec_b32 s0, s2
	s_cbranch_execz .LBB53_12
.LBB53_17:                              ;   in Loop: Header=BB53_6 Depth=1
	s_waitcnt lgkmcnt(0)
	v_dual_mov_b32 v9, v10 :: v_dual_mov_b32 v8, v11
	s_or_b32 exec_lo, exec_lo, s0
	s_and_saveexec_b32 s2, vcc_lo
	s_cbranch_execnz .LBB53_13
	s_branch .LBB53_14
.LBB53_18:
	s_nop 0
	s_sendmsg sendmsg(MSG_DEALLOC_VGPRS)
	s_endpgm
	.section	.rodata,"a",@progbits
	.p2align	6, 0x0
	.amdhsa_kernel _ZN4vllm3moe17topkGatingSoftmaxILi4ELi16ELi4ELi16ELi64ElEEvPKfPKbPfiPT4_Piiii
		.amdhsa_group_segment_fixed_size 4096
		.amdhsa_private_segment_fixed_size 0
		.amdhsa_kernarg_size 60
		.amdhsa_user_sgpr_count 15
		.amdhsa_user_sgpr_dispatch_ptr 1
		.amdhsa_user_sgpr_queue_ptr 0
		.amdhsa_user_sgpr_kernarg_segment_ptr 1
		.amdhsa_user_sgpr_dispatch_id 0
		.amdhsa_user_sgpr_private_segment_size 0
		.amdhsa_wavefront_size32 1
		.amdhsa_uses_dynamic_stack 0
		.amdhsa_enable_private_segment 0
		.amdhsa_system_sgpr_workgroup_id_x 1
		.amdhsa_system_sgpr_workgroup_id_y 0
		.amdhsa_system_sgpr_workgroup_id_z 0
		.amdhsa_system_sgpr_workgroup_info 0
		.amdhsa_system_vgpr_workitem_id 2
		.amdhsa_next_free_vgpr 23
		.amdhsa_next_free_sgpr 16
		.amdhsa_reserve_vcc 1
		.amdhsa_float_round_mode_32 0
		.amdhsa_float_round_mode_16_64 0
		.amdhsa_float_denorm_mode_32 3
		.amdhsa_float_denorm_mode_16_64 3
		.amdhsa_dx10_clamp 1
		.amdhsa_ieee_mode 1
		.amdhsa_fp16_overflow 0
		.amdhsa_workgroup_processor_mode 1
		.amdhsa_memory_ordered 1
		.amdhsa_forward_progress 0
		.amdhsa_shared_vgpr_count 0
		.amdhsa_exception_fp_ieee_invalid_op 0
		.amdhsa_exception_fp_denorm_src 0
		.amdhsa_exception_fp_ieee_div_zero 0
		.amdhsa_exception_fp_ieee_overflow 0
		.amdhsa_exception_fp_ieee_underflow 0
		.amdhsa_exception_fp_ieee_inexact 0
		.amdhsa_exception_int_div_zero 0
	.end_amdhsa_kernel
	.section	.text._ZN4vllm3moe17topkGatingSoftmaxILi4ELi16ELi4ELi16ELi64ElEEvPKfPKbPfiPT4_Piiii,"axG",@progbits,_ZN4vllm3moe17topkGatingSoftmaxILi4ELi16ELi4ELi16ELi64ElEEvPKfPKbPfiPT4_Piiii,comdat
.Lfunc_end53:
	.size	_ZN4vllm3moe17topkGatingSoftmaxILi4ELi16ELi4ELi16ELi64ElEEvPKfPKbPfiPT4_Piiii, .Lfunc_end53-_ZN4vllm3moe17topkGatingSoftmaxILi4ELi16ELi4ELi16ELi64ElEEvPKfPKbPfiPT4_Piiii
                                        ; -- End function
	.section	.AMDGPU.csdata,"",@progbits
; Kernel info:
; codeLenInByte = 1764
; NumSgprs: 18
; NumVgprs: 23
; ScratchSize: 0
; MemoryBound: 0
; FloatMode: 240
; IeeeMode: 1
; LDSByteSize: 4096 bytes/workgroup (compile time only)
; SGPRBlocks: 2
; VGPRBlocks: 2
; NumSGPRsForWavesPerEU: 18
; NumVGPRsForWavesPerEU: 23
; Occupancy: 16
; WaveLimiterHint : 0
; COMPUTE_PGM_RSRC2:SCRATCH_EN: 0
; COMPUTE_PGM_RSRC2:USER_SGPR: 15
; COMPUTE_PGM_RSRC2:TRAP_HANDLER: 0
; COMPUTE_PGM_RSRC2:TGID_X_EN: 1
; COMPUTE_PGM_RSRC2:TGID_Y_EN: 0
; COMPUTE_PGM_RSRC2:TGID_Z_EN: 0
; COMPUTE_PGM_RSRC2:TIDIG_COMP_CNT: 2
	.section	.text._ZN4vllm3moe17topkGatingSoftmaxILi4ELi16ELi4ELi16ELi32ElEEvPKfPKbPfiPT4_Piiii,"axG",@progbits,_ZN4vllm3moe17topkGatingSoftmaxILi4ELi16ELi4ELi16ELi32ElEEvPKfPKbPfiPT4_Piiii,comdat
	.protected	_ZN4vllm3moe17topkGatingSoftmaxILi4ELi16ELi4ELi16ELi32ElEEvPKfPKbPfiPT4_Piiii ; -- Begin function _ZN4vllm3moe17topkGatingSoftmaxILi4ELi16ELi4ELi16ELi32ElEEvPKfPKbPfiPT4_Piiii
	.globl	_ZN4vllm3moe17topkGatingSoftmaxILi4ELi16ELi4ELi16ELi32ElEEvPKfPKbPfiPT4_Piiii
	.p2align	8
	.type	_ZN4vllm3moe17topkGatingSoftmaxILi4ELi16ELi4ELi16ELi32ElEEvPKfPKbPfiPT4_Piiii,@function
_ZN4vllm3moe17topkGatingSoftmaxILi4ELi16ELi4ELi16ELi32ElEEvPKfPKbPfiPT4_Piiii: ; @_ZN4vllm3moe17topkGatingSoftmaxILi4ELi16ELi4ELi16ELi32ElEEvPKfPKbPfiPT4_Piiii
; %bb.0:
	s_load_b32 s14, s[2:3], 0x18
	v_bfe_u32 v6, v0, 10, 10
	v_and_b32_e32 v5, 0x3ff, v0
	s_lshl_b32 s4, s15, 5
	s_delay_alu instid0(VALU_DEP_2) | instskip(NEXT) | instid1(VALU_DEP_2)
	v_lshlrev_b32_e32 v1, 3, v6
	v_lshrrev_b32_e32 v2, 2, v5
	s_delay_alu instid0(VALU_DEP_1) | instskip(SKIP_2) | instid1(VALU_DEP_1)
	v_add3_u32 v1, s4, v1, v2
	s_mov_b32 s4, exec_lo
	s_waitcnt lgkmcnt(0)
	v_cmpx_gt_i32_e64 s14, v1
	s_cbranch_execz .LBB54_18
; %bb.1:
	s_clause 0x1
	s_load_b128 s[4:7], s[2:3], 0x0
	s_load_b64 s[12:13], s[2:3], 0x10
	s_mov_b32 s15, -1
	s_waitcnt lgkmcnt(0)
	s_cmp_eq_u64 s[6:7], 0
	s_cbranch_scc1 .LBB54_3
; %bb.2:
	v_ashrrev_i32_e32 v3, 31, v1
	v_add_co_u32 v2, vcc_lo, s6, v1
	s_delay_alu instid0(VALU_DEP_2) | instskip(SKIP_3) | instid1(VALU_DEP_1)
	v_add_co_ci_u32_e32 v3, vcc_lo, s7, v3, vcc_lo
	global_load_u8 v2, v[2:3], off
	s_waitcnt vmcnt(0)
	v_and_b32_e32 v2, 1, v2
	v_cmp_eq_u32_e32 vcc_lo, 1, v2
	s_xor_b32 s6, vcc_lo, -1
	s_delay_alu instid0(SALU_CYCLE_1)
	s_or_not1_b32 s15, s6, exec_lo
.LBB54_3:
	v_lshlrev_b32_e32 v3, 4, v1
	v_and_b32_e32 v2, 3, v5
	s_load_b64 s[0:1], s[0:1], 0x4
	v_bfe_u32 v0, v0, 20, 10
	s_delay_alu instid0(VALU_DEP_3) | instskip(NEXT) | instid1(VALU_DEP_3)
	v_ashrrev_i32_e32 v4, 31, v3
	v_lshlrev_b32_e32 v7, 4, v2
	s_delay_alu instid0(VALU_DEP_2) | instskip(NEXT) | instid1(VALU_DEP_1)
	v_lshlrev_b64 v[3:4], 2, v[3:4]
	v_add_co_u32 v3, vcc_lo, s4, v3
	s_delay_alu instid0(VALU_DEP_2) | instskip(SKIP_1) | instid1(VALU_DEP_2)
	v_add_co_ci_u32_e32 v4, vcc_lo, s5, v4, vcc_lo
	s_load_b128 s[4:7], s[2:3], 0x30
	v_add_co_u32 v3, vcc_lo, v3, v7
	s_delay_alu instid0(VALU_DEP_2)
	v_add_co_ci_u32_e32 v4, vcc_lo, 0, v4, vcc_lo
	s_waitcnt lgkmcnt(0)
	v_mul_u32_u24_e32 v6, s1, v6
	s_lshr_b32 s0, s0, 16
	s_mov_b32 s7, 0
	global_load_b128 v[7:10], v[3:4], off
	v_mbcnt_lo_u32_b32 v4, -1, 0
	s_mul_i32 s0, s0, s1
	s_delay_alu instid0(SALU_CYCLE_1) | instskip(NEXT) | instid1(VALU_DEP_2)
	v_mad_u32_u24 v5, s0, v5, v6
	v_and_b32_e32 v3, 28, v4
	v_xor_b32_e32 v11, 2, v4
	v_xor_b32_e32 v14, 1, v4
	s_delay_alu instid0(VALU_DEP_4) | instskip(NEXT) | instid1(VALU_DEP_4)
	v_add_lshl_u32 v0, v5, v0, 4
	v_add_nc_u32_e32 v12, 4, v3
	s_cmp_lt_i32 s4, 1
	s_delay_alu instid0(VALU_DEP_1) | instskip(SKIP_3) | instid1(VALU_DEP_1)
	v_cmp_lt_i32_e32 vcc_lo, v11, v12
	v_cndmask_b32_e32 v11, v4, v11, vcc_lo
	v_cmp_lt_i32_e32 vcc_lo, v14, v12
	v_cndmask_b32_e32 v4, v4, v14, vcc_lo
	v_lshlrev_b32_e32 v4, 2, v4
	s_waitcnt vmcnt(0)
	v_max_f32_e32 v3, v8, v8
	v_max_f32_e32 v13, v7, v7
	s_delay_alu instid0(VALU_DEP_1) | instskip(SKIP_1) | instid1(VALU_DEP_2)
	v_max_f32_e32 v13, v13, v3
	v_lshlrev_b32_e32 v3, 2, v11
	v_max3_f32 v11, v13, v9, v10
	ds_bpermute_b32 v13, v3, v11
	s_waitcnt lgkmcnt(0)
	v_max_f32_e32 v12, v13, v13
	s_delay_alu instid0(VALU_DEP_1) | instskip(SKIP_3) | instid1(VALU_DEP_1)
	v_max_f32_e32 v11, v11, v12
	ds_bpermute_b32 v12, v4, v11
	s_waitcnt lgkmcnt(0)
	v_max_f32_e32 v12, v12, v12
	v_max_f32_e32 v11, v11, v12
	s_delay_alu instid0(VALU_DEP_1) | instskip(NEXT) | instid1(VALU_DEP_1)
	v_sub_f32_e32 v10, v10, v11
	v_mul_f32_e32 v14, 0x3fb8aa3b, v10
	s_delay_alu instid0(VALU_DEP_1) | instskip(SKIP_1) | instid1(VALU_DEP_2)
	v_rndne_f32_e32 v22, v14
	v_fma_f32 v21, 0x3fb8aa3b, v10, -v14
	v_sub_f32_e32 v14, v14, v22
	s_delay_alu instid0(VALU_DEP_2) | instskip(NEXT) | instid1(VALU_DEP_1)
	v_dual_sub_f32 v8, v8, v11 :: v_dual_fmac_f32 v21, 0x32a5705f, v10
	v_dual_sub_f32 v9, v9, v11 :: v_dual_mul_f32 v12, 0x3fb8aa3b, v8
	s_delay_alu instid0(VALU_DEP_2) | instskip(NEXT) | instid1(VALU_DEP_2)
	v_add_f32_e32 v14, v14, v21
	v_mul_f32_e32 v13, 0x3fb8aa3b, v9
	s_delay_alu instid0(VALU_DEP_3) | instskip(SKIP_1) | instid1(VALU_DEP_3)
	v_fma_f32 v17, 0x3fb8aa3b, v8, -v12
	v_rndne_f32_e32 v18, v12
	v_fma_f32 v19, 0x3fb8aa3b, v9, -v13
	v_rndne_f32_e32 v20, v13
	v_exp_f32_e32 v14, v14
	s_delay_alu instid0(VALU_DEP_3) | instskip(SKIP_2) | instid1(VALU_DEP_3)
	v_dual_fmac_f32 v17, 0x32a5705f, v8 :: v_dual_sub_f32 v12, v12, v18
	v_sub_f32_e32 v7, v7, v11
	v_fmac_f32_e32 v19, 0x32a5705f, v9
	v_dual_sub_f32 v13, v13, v20 :: v_dual_add_f32 v12, v12, v17
	s_delay_alu instid0(VALU_DEP_3) | instskip(SKIP_1) | instid1(VALU_DEP_3)
	v_mul_f32_e32 v11, 0x3fb8aa3b, v7
	v_cmp_ngt_f32_e32 vcc_lo, 0xc2ce8ed0, v7
	v_add_f32_e32 v13, v13, v19
	v_cvt_i32_f32_e32 v17, v20
	v_exp_f32_e32 v12, v12
	v_fma_f32 v15, 0x3fb8aa3b, v7, -v11
	v_rndne_f32_e32 v16, v11
	v_exp_f32_e32 v13, v13
	s_delay_alu instid0(VALU_DEP_2) | instskip(NEXT) | instid1(VALU_DEP_2)
	v_fmac_f32_e32 v15, 0x32a5705f, v7
	v_sub_f32_e32 v11, v11, v16
	s_delay_alu instid0(VALU_DEP_1)
	v_add_f32_e32 v11, v11, v15
	v_cvt_i32_f32_e32 v15, v16
	v_cvt_i32_f32_e32 v16, v18
	s_waitcnt_depctr 0xfff
	v_ldexp_f32 v13, v13, v17
	v_cvt_i32_f32_e32 v18, v22
	v_exp_f32_e32 v11, v11
	v_ldexp_f32 v12, v12, v16
	s_delay_alu instid0(VALU_DEP_2) | instskip(SKIP_2) | instid1(VALU_DEP_1)
	v_ldexp_f32 v14, v14, v18
	s_waitcnt_depctr 0xfff
	v_ldexp_f32 v11, v11, v15
	v_cndmask_b32_e32 v11, 0, v11, vcc_lo
	v_cmp_ngt_f32_e32 vcc_lo, 0xc2ce8ed0, v8
	v_cndmask_b32_e32 v12, 0, v12, vcc_lo
	v_cmp_ngt_f32_e32 vcc_lo, 0xc2ce8ed0, v9
	v_cndmask_b32_e32 v13, 0, v13, vcc_lo
	v_cmp_nlt_f32_e32 vcc_lo, 0x42b17218, v7
	v_cndmask_b32_e32 v7, 0x7f800000, v11, vcc_lo
	v_cmp_nlt_f32_e32 vcc_lo, 0x42b17218, v8
	v_cndmask_b32_e32 v8, 0x7f800000, v12, vcc_lo
	v_cmp_ngt_f32_e32 vcc_lo, 0xc2ce8ed0, v10
	s_delay_alu instid0(VALU_DEP_2) | instskip(SKIP_3) | instid1(VALU_DEP_2)
	v_dual_add_f32 v12, v7, v8 :: v_dual_cndmask_b32 v11, 0, v14
	v_cmp_nlt_f32_e32 vcc_lo, 0x42b17218, v9
	v_cndmask_b32_e32 v9, 0x7f800000, v13, vcc_lo
	v_cmp_nlt_f32_e32 vcc_lo, 0x42b17218, v10
	v_dual_cndmask_b32 v10, 0x7f800000, v11 :: v_dual_add_f32 v11, v12, v9
	s_delay_alu instid0(VALU_DEP_1)
	v_add_f32_e32 v11, v11, v10
	ds_bpermute_b32 v12, v3, v11
	s_waitcnt lgkmcnt(0)
	v_add_f32_e32 v11, v11, v12
	ds_bpermute_b32 v12, v4, v11
	s_waitcnt lgkmcnt(0)
	v_add_f32_e32 v11, v11, v12
	s_delay_alu instid0(VALU_DEP_1) | instskip(SKIP_1) | instid1(VALU_DEP_2)
	v_div_scale_f32 v12, null, v11, v11, 1.0
	v_div_scale_f32 v15, vcc_lo, 1.0, v11, 1.0
	v_rcp_f32_e32 v13, v12
	s_waitcnt_depctr 0xfff
	v_fma_f32 v14, -v12, v13, 1.0
	s_delay_alu instid0(VALU_DEP_1) | instskip(NEXT) | instid1(VALU_DEP_1)
	v_fmac_f32_e32 v13, v14, v13
	v_mul_f32_e32 v14, v15, v13
	s_delay_alu instid0(VALU_DEP_1) | instskip(NEXT) | instid1(VALU_DEP_1)
	v_fma_f32 v16, -v12, v14, v15
	v_fmac_f32_e32 v14, v16, v13
	s_delay_alu instid0(VALU_DEP_1) | instskip(NEXT) | instid1(VALU_DEP_1)
	v_fma_f32 v12, -v12, v14, v15
	v_div_fmas_f32 v12, v12, v13, v14
	s_delay_alu instid0(VALU_DEP_1) | instskip(NEXT) | instid1(VALU_DEP_1)
	v_div_fixup_f32 v11, v12, v11, 1.0
	v_mul_f32_e32 v5, v11, v7
	v_mul_f32_e32 v6, v11, v8
	;; [unrolled: 1-line block ×4, first 2 shown]
	ds_store_b128 v0, v[5:8]
	s_cbranch_scc1 .LBB54_18
; %bb.4:
	s_load_b128 s[8:11], s[2:3], 0x20
	v_mul_lo_u32 v5, v1, s4
	v_dual_mov_b32 v7, 0xc61c4000 :: v_dual_lshlrev_b32 v6, 2, v2
	v_cmp_eq_u32_e32 vcc_lo, 0, v2
	s_branch .LBB54_6
.LBB54_5:                               ;   in Loop: Header=BB54_6 Depth=1
	s_or_b32 exec_lo, exec_lo, s0
	v_add_nc_u32_e32 v1, s14, v1
	s_cmp_lg_u32 s4, s7
	s_cbranch_scc0 .LBB54_18
.LBB54_6:                               ; =>This Inner Loop Header: Depth=1
	ds_load_b128 v[8:11], v0
	s_mov_b32 s3, exec_lo
	s_waitcnt lgkmcnt(0)
	v_cmp_gt_f32_e64 s0, v9, v8
	s_delay_alu instid0(VALU_DEP_1) | instskip(SKIP_1) | instid1(VALU_DEP_2)
	v_cndmask_b32_e64 v8, v8, v9, s0
	v_cndmask_b32_e64 v9, 0, 1, s0
	v_cmp_gt_f32_e64 s0, v10, v8
	s_delay_alu instid0(VALU_DEP_1) | instskip(NEXT) | instid1(VALU_DEP_3)
	v_cndmask_b32_e64 v8, v8, v10, s0
	v_cndmask_b32_e64 v10, v9, 2, s0
	s_delay_alu instid0(VALU_DEP_2) | instskip(NEXT) | instid1(VALU_DEP_1)
	v_cmp_gt_f32_e64 s0, v11, v8
	v_cndmask_b32_e64 v9, v8, v11, s0
	s_delay_alu instid0(VALU_DEP_3)
	v_cndmask_b32_e64 v8, v10, 3, s0
	ds_bpermute_b32 v10, v3, v9
	v_or_b32_e32 v8, v6, v8
	ds_bpermute_b32 v11, v3, v8
	s_waitcnt lgkmcnt(1)
	v_cmp_lt_f32_e64 s2, v9, v10
	v_cmpx_nlt_f32_e32 v9, v10
	s_cbranch_execz .LBB54_8
; %bb.7:                                ;   in Loop: Header=BB54_6 Depth=1
	v_cmp_eq_f32_e64 s0, v9, v10
	s_waitcnt lgkmcnt(0)
	v_cmp_lt_i32_e64 s1, v11, v8
	s_delay_alu instid0(VALU_DEP_1) | instskip(SKIP_2) | instid1(SALU_CYCLE_1)
	s_and_b32 s0, s0, s1
	s_and_not1_b32 s1, s2, exec_lo
	s_and_b32 s0, s0, exec_lo
	s_or_b32 s2, s1, s0
.LBB54_8:                               ;   in Loop: Header=BB54_6 Depth=1
	s_or_b32 exec_lo, exec_lo, s3
	s_delay_alu instid0(VALU_DEP_2)
	s_and_saveexec_b32 s0, s2
	s_cbranch_execz .LBB54_10
; %bb.9:                                ;   in Loop: Header=BB54_6 Depth=1
	s_waitcnt lgkmcnt(0)
	v_dual_mov_b32 v9, v10 :: v_dual_mov_b32 v8, v11
.LBB54_10:                              ;   in Loop: Header=BB54_6 Depth=1
	s_or_b32 exec_lo, exec_lo, s0
	ds_bpermute_b32 v10, v4, v9
	s_waitcnt lgkmcnt(1)
	ds_bpermute_b32 v11, v4, v8
	s_mov_b32 s3, exec_lo
	s_waitcnt lgkmcnt(1)
	v_cmp_lt_f32_e64 s2, v9, v10
	v_cmpx_nlt_f32_e32 v9, v10
	s_cbranch_execnz .LBB54_16
; %bb.11:                               ;   in Loop: Header=BB54_6 Depth=1
	s_or_b32 exec_lo, exec_lo, s3
	s_delay_alu instid0(VALU_DEP_2)
	s_and_saveexec_b32 s0, s2
	s_cbranch_execnz .LBB54_17
.LBB54_12:                              ;   in Loop: Header=BB54_6 Depth=1
	s_or_b32 exec_lo, exec_lo, s0
	s_and_saveexec_b32 s2, vcc_lo
	s_cbranch_execz .LBB54_14
.LBB54_13:                              ;   in Loop: Header=BB54_6 Depth=1
	v_add_nc_u32_e32 v10, s7, v5
	v_subrev_nc_u32_e32 v14, s5, v8
	v_cmp_le_i32_e64 s0, s5, v8
	v_cmp_gt_i32_e64 s1, s6, v8
	s_waitcnt lgkmcnt(0)
	v_ashrrev_i32_e32 v11, 31, v10
	v_ashrrev_i32_e32 v15, 31, v14
	s_delay_alu instid0(VALU_DEP_3) | instskip(NEXT) | instid1(SALU_CYCLE_1)
	s_and_b32 s0, s0, s1
	s_and_b32 s0, s15, s0
	s_delay_alu instid0(VALU_DEP_2) | instskip(SKIP_3) | instid1(VALU_DEP_4)
	v_lshlrev_b64 v[12:13], 2, v[10:11]
	v_lshlrev_b64 v[10:11], 3, v[10:11]
	v_cndmask_b32_e64 v15, 0, v15, s0
	v_cndmask_b32_e64 v14, 16, v14, s0
	v_add_co_u32 v16, s0, s12, v12
	s_delay_alu instid0(VALU_DEP_1) | instskip(SKIP_1) | instid1(VALU_DEP_1)
	v_add_co_ci_u32_e64 v17, s0, s13, v13, s0
	v_add_co_u32 v10, s0, s8, v10
	v_add_co_ci_u32_e64 v11, s0, s9, v11, s0
	v_add_co_u32 v12, s0, s10, v12
	s_delay_alu instid0(VALU_DEP_1)
	v_add_co_ci_u32_e64 v13, s0, s11, v13, s0
	global_store_b32 v[16:17], v9, off
	global_store_b64 v[10:11], v[14:15], off
	global_store_b32 v[12:13], v1, off
.LBB54_14:                              ;   in Loop: Header=BB54_6 Depth=1
	s_or_b32 exec_lo, exec_lo, s2
	v_ashrrev_i32_e32 v9, 31, v8
	s_add_i32 s7, s7, 1
	s_delay_alu instid0(SALU_CYCLE_1) | instskip(SKIP_1) | instid1(VALU_DEP_1)
	s_cmp_lt_i32 s7, s4
	s_cselect_b32 s1, -1, 0
	v_lshrrev_b32_e32 v10, 30, v9
	s_delay_alu instid0(VALU_DEP_1) | instskip(NEXT) | instid1(VALU_DEP_1)
	v_add_nc_u32_e32 v10, v8, v10
	v_ashrrev_i32_e32 v10, 2, v10
	s_waitcnt lgkmcnt(0)
	s_delay_alu instid0(VALU_DEP_1) | instskip(NEXT) | instid1(VALU_DEP_1)
	v_lshrrev_b32_e32 v11, 30, v10
	v_add_nc_u32_e32 v11, v10, v11
	s_delay_alu instid0(VALU_DEP_1) | instskip(NEXT) | instid1(VALU_DEP_1)
	v_and_b32_e32 v11, -4, v11
	v_sub_nc_u32_e32 v11, v10, v11
	s_delay_alu instid0(VALU_DEP_1) | instskip(NEXT) | instid1(VALU_DEP_1)
	v_cmp_eq_u32_e64 s0, v2, v11
	s_and_b32 s1, s1, s0
	s_delay_alu instid0(SALU_CYCLE_1)
	s_and_saveexec_b32 s0, s1
	s_cbranch_execz .LBB54_5
; %bb.15:                               ;   in Loop: Header=BB54_6 Depth=1
	v_lshrrev_b32_e32 v9, 28, v9
	v_lshlrev_b32_e32 v10, 2, v10
	s_delay_alu instid0(VALU_DEP_2) | instskip(NEXT) | instid1(VALU_DEP_2)
	v_add_nc_u32_e32 v9, v8, v9
	v_sub_nc_u32_e32 v8, v8, v10
	s_delay_alu instid0(VALU_DEP_2) | instskip(NEXT) | instid1(VALU_DEP_1)
	v_lshrrev_b32_e32 v9, 2, v9
	v_and_b32_e32 v9, 0x3ffffffc, v9
	s_delay_alu instid0(VALU_DEP_1) | instskip(NEXT) | instid1(VALU_DEP_1)
	v_add_nc_u32_e32 v8, v9, v8
	v_lshl_add_u32 v8, v8, 2, v0
	ds_store_b32 v8, v7
	s_branch .LBB54_5
.LBB54_16:                              ;   in Loop: Header=BB54_6 Depth=1
	v_cmp_eq_f32_e64 s0, v9, v10
	s_waitcnt lgkmcnt(0)
	v_cmp_lt_i32_e64 s1, v11, v8
	s_delay_alu instid0(VALU_DEP_1) | instskip(SKIP_2) | instid1(SALU_CYCLE_1)
	s_and_b32 s0, s0, s1
	s_and_not1_b32 s1, s2, exec_lo
	s_and_b32 s0, s0, exec_lo
	s_or_b32 s2, s1, s0
	s_or_b32 exec_lo, exec_lo, s3
	s_and_saveexec_b32 s0, s2
	s_cbranch_execz .LBB54_12
.LBB54_17:                              ;   in Loop: Header=BB54_6 Depth=1
	s_waitcnt lgkmcnt(0)
	v_dual_mov_b32 v9, v10 :: v_dual_mov_b32 v8, v11
	s_or_b32 exec_lo, exec_lo, s0
	s_and_saveexec_b32 s2, vcc_lo
	s_cbranch_execnz .LBB54_13
	s_branch .LBB54_14
.LBB54_18:
	s_nop 0
	s_sendmsg sendmsg(MSG_DEALLOC_VGPRS)
	s_endpgm
	.section	.rodata,"a",@progbits
	.p2align	6, 0x0
	.amdhsa_kernel _ZN4vllm3moe17topkGatingSoftmaxILi4ELi16ELi4ELi16ELi32ElEEvPKfPKbPfiPT4_Piiii
		.amdhsa_group_segment_fixed_size 2048
		.amdhsa_private_segment_fixed_size 0
		.amdhsa_kernarg_size 60
		.amdhsa_user_sgpr_count 15
		.amdhsa_user_sgpr_dispatch_ptr 1
		.amdhsa_user_sgpr_queue_ptr 0
		.amdhsa_user_sgpr_kernarg_segment_ptr 1
		.amdhsa_user_sgpr_dispatch_id 0
		.amdhsa_user_sgpr_private_segment_size 0
		.amdhsa_wavefront_size32 1
		.amdhsa_uses_dynamic_stack 0
		.amdhsa_enable_private_segment 0
		.amdhsa_system_sgpr_workgroup_id_x 1
		.amdhsa_system_sgpr_workgroup_id_y 0
		.amdhsa_system_sgpr_workgroup_id_z 0
		.amdhsa_system_sgpr_workgroup_info 0
		.amdhsa_system_vgpr_workitem_id 2
		.amdhsa_next_free_vgpr 23
		.amdhsa_next_free_sgpr 16
		.amdhsa_reserve_vcc 1
		.amdhsa_float_round_mode_32 0
		.amdhsa_float_round_mode_16_64 0
		.amdhsa_float_denorm_mode_32 3
		.amdhsa_float_denorm_mode_16_64 3
		.amdhsa_dx10_clamp 1
		.amdhsa_ieee_mode 1
		.amdhsa_fp16_overflow 0
		.amdhsa_workgroup_processor_mode 1
		.amdhsa_memory_ordered 1
		.amdhsa_forward_progress 0
		.amdhsa_shared_vgpr_count 0
		.amdhsa_exception_fp_ieee_invalid_op 0
		.amdhsa_exception_fp_denorm_src 0
		.amdhsa_exception_fp_ieee_div_zero 0
		.amdhsa_exception_fp_ieee_overflow 0
		.amdhsa_exception_fp_ieee_underflow 0
		.amdhsa_exception_fp_ieee_inexact 0
		.amdhsa_exception_int_div_zero 0
	.end_amdhsa_kernel
	.section	.text._ZN4vllm3moe17topkGatingSoftmaxILi4ELi16ELi4ELi16ELi32ElEEvPKfPKbPfiPT4_Piiii,"axG",@progbits,_ZN4vllm3moe17topkGatingSoftmaxILi4ELi16ELi4ELi16ELi32ElEEvPKfPKbPfiPT4_Piiii,comdat
.Lfunc_end54:
	.size	_ZN4vllm3moe17topkGatingSoftmaxILi4ELi16ELi4ELi16ELi32ElEEvPKfPKbPfiPT4_Piiii, .Lfunc_end54-_ZN4vllm3moe17topkGatingSoftmaxILi4ELi16ELi4ELi16ELi32ElEEvPKfPKbPfiPT4_Piiii
                                        ; -- End function
	.section	.AMDGPU.csdata,"",@progbits
; Kernel info:
; codeLenInByte = 1760
; NumSgprs: 18
; NumVgprs: 23
; ScratchSize: 0
; MemoryBound: 0
; FloatMode: 240
; IeeeMode: 1
; LDSByteSize: 2048 bytes/workgroup (compile time only)
; SGPRBlocks: 2
; VGPRBlocks: 2
; NumSGPRsForWavesPerEU: 18
; NumVGPRsForWavesPerEU: 23
; Occupancy: 16
; WaveLimiterHint : 0
; COMPUTE_PGM_RSRC2:SCRATCH_EN: 0
; COMPUTE_PGM_RSRC2:USER_SGPR: 15
; COMPUTE_PGM_RSRC2:TRAP_HANDLER: 0
; COMPUTE_PGM_RSRC2:TGID_X_EN: 1
; COMPUTE_PGM_RSRC2:TGID_Y_EN: 0
; COMPUTE_PGM_RSRC2:TGID_Z_EN: 0
; COMPUTE_PGM_RSRC2:TIDIG_COMP_CNT: 2
	.section	.text._ZN4vllm3moe17topkGatingSoftmaxILi4ELi32ELi4ELi16ELi64ElEEvPKfPKbPfiPT4_Piiii,"axG",@progbits,_ZN4vllm3moe17topkGatingSoftmaxILi4ELi32ELi4ELi16ELi64ElEEvPKfPKbPfiPT4_Piiii,comdat
	.protected	_ZN4vllm3moe17topkGatingSoftmaxILi4ELi32ELi4ELi16ELi64ElEEvPKfPKbPfiPT4_Piiii ; -- Begin function _ZN4vllm3moe17topkGatingSoftmaxILi4ELi32ELi4ELi16ELi64ElEEvPKfPKbPfiPT4_Piiii
	.globl	_ZN4vllm3moe17topkGatingSoftmaxILi4ELi32ELi4ELi16ELi64ElEEvPKfPKbPfiPT4_Piiii
	.p2align	8
	.type	_ZN4vllm3moe17topkGatingSoftmaxILi4ELi32ELi4ELi16ELi64ElEEvPKfPKbPfiPT4_Piiii,@function
_ZN4vllm3moe17topkGatingSoftmaxILi4ELi32ELi4ELi16ELi64ElEEvPKfPKbPfiPT4_Piiii: ; @_ZN4vllm3moe17topkGatingSoftmaxILi4ELi32ELi4ELi16ELi64ElEEvPKfPKbPfiPT4_Piiii
; %bb.0:
	s_load_b32 s14, s[2:3], 0x18
	v_bfe_u32 v6, v0, 10, 10
	v_and_b32_e32 v7, 0x3ff, v0
	s_lshl_b32 s4, s15, 5
	s_delay_alu instid0(VALU_DEP_2) | instskip(NEXT) | instid1(VALU_DEP_2)
	v_lshlrev_b32_e32 v1, 3, v6
	v_lshrrev_b32_e32 v2, 3, v7
	s_delay_alu instid0(VALU_DEP_1) | instskip(SKIP_2) | instid1(VALU_DEP_1)
	v_add3_u32 v1, s4, v1, v2
	s_mov_b32 s4, exec_lo
	s_waitcnt lgkmcnt(0)
	v_cmpx_gt_i32_e64 s14, v1
	s_cbranch_execz .LBB55_22
; %bb.1:
	s_clause 0x1
	s_load_b128 s[4:7], s[2:3], 0x0
	s_load_b64 s[12:13], s[2:3], 0x10
	s_mov_b32 s15, -1
	s_waitcnt lgkmcnt(0)
	s_cmp_eq_u64 s[6:7], 0
	s_cbranch_scc1 .LBB55_3
; %bb.2:
	v_ashrrev_i32_e32 v3, 31, v1
	v_add_co_u32 v2, vcc_lo, s6, v1
	s_delay_alu instid0(VALU_DEP_2) | instskip(SKIP_3) | instid1(VALU_DEP_1)
	v_add_co_ci_u32_e32 v3, vcc_lo, s7, v3, vcc_lo
	global_load_u8 v2, v[2:3], off
	s_waitcnt vmcnt(0)
	v_and_b32_e32 v2, 1, v2
	v_cmp_eq_u32_e32 vcc_lo, 1, v2
	s_xor_b32 s6, vcc_lo, -1
	s_delay_alu instid0(SALU_CYCLE_1)
	s_or_not1_b32 s15, s6, exec_lo
.LBB55_3:
	v_lshlrev_b32_e32 v3, 5, v1
	v_and_b32_e32 v2, 7, v7
	s_load_b64 s[0:1], s[0:1], 0x4
	v_bfe_u32 v0, v0, 20, 10
	s_delay_alu instid0(VALU_DEP_3) | instskip(NEXT) | instid1(VALU_DEP_3)
	v_ashrrev_i32_e32 v4, 31, v3
	v_lshlrev_b32_e32 v5, 4, v2
	s_delay_alu instid0(VALU_DEP_2) | instskip(NEXT) | instid1(VALU_DEP_1)
	v_lshlrev_b64 v[3:4], 2, v[3:4]
	v_add_co_u32 v3, vcc_lo, s4, v3
	s_delay_alu instid0(VALU_DEP_2) | instskip(SKIP_1) | instid1(VALU_DEP_2)
	v_add_co_ci_u32_e32 v4, vcc_lo, s5, v4, vcc_lo
	s_load_b128 s[4:7], s[2:3], 0x30
	v_add_co_u32 v3, vcc_lo, v3, v5
	s_delay_alu instid0(VALU_DEP_2)
	v_add_co_ci_u32_e32 v4, vcc_lo, 0, v4, vcc_lo
	v_mbcnt_lo_u32_b32 v5, -1, 0
	s_waitcnt lgkmcnt(0)
	s_lshr_b32 s0, s0, 16
	s_mov_b32 s7, 0
	global_load_b128 v[8:11], v[3:4], off
	s_mul_i32 s0, s0, s1
	v_xor_b32_e32 v14, 2, v5
	v_and_b32_e32 v3, 24, v5
	v_xor_b32_e32 v4, 4, v5
	v_mul_lo_u32 v7, s0, v7
	s_delay_alu instid0(VALU_DEP_3) | instskip(SKIP_1) | instid1(VALU_DEP_2)
	v_add_nc_u32_e32 v12, 8, v3
	s_cmp_lt_i32 s4, 1
	v_mad_u32_u24 v6, v6, s1, v7
	s_delay_alu instid0(VALU_DEP_1)
	v_add_lshl_u32 v0, v6, v0, 4
	s_waitcnt vmcnt(0)
	v_max_f32_e32 v13, v8, v8
	v_cmp_lt_i32_e32 vcc_lo, v4, v12
	v_max_f32_e32 v3, v9, v9
	v_cndmask_b32_e32 v4, v5, v4, vcc_lo
	v_cmp_lt_i32_e32 vcc_lo, v14, v12
	v_cndmask_b32_e32 v14, v5, v14, vcc_lo
	s_delay_alu instid0(VALU_DEP_4) | instskip(NEXT) | instid1(VALU_DEP_4)
	v_max_f32_e32 v13, v13, v3
	v_lshlrev_b32_e32 v3, 2, v4
	s_delay_alu instid0(VALU_DEP_2) | instskip(SKIP_3) | instid1(VALU_DEP_1)
	v_max3_f32 v13, v13, v10, v11
	ds_bpermute_b32 v4, v3, v13
	s_waitcnt lgkmcnt(0)
	v_dual_max_f32 v15, v4, v4 :: v_dual_lshlrev_b32 v4, 2, v14
	v_max_f32_e32 v13, v13, v15
	v_xor_b32_e32 v15, 1, v5
	ds_bpermute_b32 v14, v4, v13
	v_cmp_lt_i32_e32 vcc_lo, v15, v12
	s_waitcnt lgkmcnt(0)
	v_max_f32_e32 v12, v14, v14
	s_delay_alu instid0(VALU_DEP_1) | instskip(SKIP_1) | instid1(VALU_DEP_1)
	v_max_f32_e32 v12, v13, v12
	v_cndmask_b32_e32 v5, v5, v15, vcc_lo
	v_lshlrev_b32_e32 v5, 2, v5
	ds_bpermute_b32 v13, v5, v12
	s_waitcnt lgkmcnt(0)
	v_max_f32_e32 v13, v13, v13
	s_delay_alu instid0(VALU_DEP_1) | instskip(NEXT) | instid1(VALU_DEP_1)
	v_max_f32_e32 v12, v12, v13
	v_sub_f32_e32 v8, v8, v12
	v_sub_f32_e32 v9, v9, v12
	;; [unrolled: 1-line block ×4, first 2 shown]
	s_delay_alu instid0(VALU_DEP_4) | instskip(SKIP_1) | instid1(VALU_DEP_4)
	v_mul_f32_e32 v12, 0x3fb8aa3b, v8
	v_cmp_ngt_f32_e32 vcc_lo, 0xc2ce8ed0, v8
	v_mul_f32_e32 v14, 0x3fb8aa3b, v10
	s_delay_alu instid0(VALU_DEP_3) | instskip(SKIP_1) | instid1(VALU_DEP_3)
	v_fma_f32 v16, 0x3fb8aa3b, v8, -v12
	v_rndne_f32_e32 v17, v12
	v_rndne_f32_e32 v21, v14
	v_fma_f32 v20, 0x3fb8aa3b, v10, -v14
	s_delay_alu instid0(VALU_DEP_4) | instskip(NEXT) | instid1(VALU_DEP_4)
	v_fmac_f32_e32 v16, 0x32a5705f, v8
	v_sub_f32_e32 v12, v12, v17
	v_mul_f32_e32 v13, 0x3fb8aa3b, v9
	v_sub_f32_e32 v14, v14, v21
	s_delay_alu instid0(VALU_DEP_3) | instskip(NEXT) | instid1(VALU_DEP_3)
	v_add_f32_e32 v12, v12, v16
	v_fma_f32 v18, 0x3fb8aa3b, v9, -v13
	v_rndne_f32_e32 v19, v13
	v_cvt_i32_f32_e32 v16, v17
	s_delay_alu instid0(VALU_DEP_4) | instskip(NEXT) | instid1(VALU_DEP_3)
	v_exp_f32_e32 v12, v12
	v_fmac_f32_e32 v18, 0x32a5705f, v9
	v_mul_f32_e32 v15, 0x3fb8aa3b, v11
	v_sub_f32_e32 v13, v13, v19
	v_cvt_i32_f32_e32 v17, v19
	s_delay_alu instid0(VALU_DEP_3) | instskip(SKIP_3) | instid1(TRANS32_DEP_1)
	v_fma_f32 v22, 0x3fb8aa3b, v11, -v15
	v_rndne_f32_e32 v23, v15
	v_fmac_f32_e32 v20, 0x32a5705f, v10
	v_add_f32_e32 v13, v13, v18
	v_ldexp_f32 v12, v12, v16
	v_fmac_f32_e32 v22, 0x32a5705f, v11
	s_delay_alu instid0(VALU_DEP_4) | instskip(NEXT) | instid1(VALU_DEP_4)
	v_dual_sub_f32 v15, v15, v23 :: v_dual_add_f32 v14, v14, v20
	v_exp_f32_e32 v13, v13
	v_cvt_i32_f32_e32 v18, v21
	v_cvt_i32_f32_e32 v19, v23
	s_delay_alu instid0(VALU_DEP_3) | instskip(SKIP_1) | instid1(VALU_DEP_1)
	v_add_f32_e32 v15, v15, v22
	v_exp_f32_e32 v14, v14
	v_exp_f32_e32 v15, v15
	s_delay_alu instid0(TRANS32_DEP_3)
	v_ldexp_f32 v13, v13, v17
	v_cndmask_b32_e32 v12, 0, v12, vcc_lo
	v_cmp_ngt_f32_e32 vcc_lo, 0xc2ce8ed0, v9
	s_waitcnt_depctr 0xfff
	v_ldexp_f32 v14, v14, v18
	v_cndmask_b32_e32 v13, 0, v13, vcc_lo
	v_cmp_ngt_f32_e32 vcc_lo, 0xc2ce8ed0, v10
	v_ldexp_f32 v15, v15, v19
	s_delay_alu instid0(VALU_DEP_4)
	v_cndmask_b32_e32 v14, 0, v14, vcc_lo
	v_cmp_nlt_f32_e32 vcc_lo, 0x42b17218, v8
	v_cndmask_b32_e32 v8, 0x7f800000, v12, vcc_lo
	v_cmp_nlt_f32_e32 vcc_lo, 0x42b17218, v9
	v_cndmask_b32_e32 v9, 0x7f800000, v13, vcc_lo
	v_cmp_ngt_f32_e32 vcc_lo, 0xc2ce8ed0, v11
	s_delay_alu instid0(VALU_DEP_2) | instskip(SKIP_3) | instid1(VALU_DEP_2)
	v_dual_add_f32 v13, v8, v9 :: v_dual_cndmask_b32 v12, 0, v15
	v_cmp_nlt_f32_e32 vcc_lo, 0x42b17218, v10
	v_cndmask_b32_e32 v10, 0x7f800000, v14, vcc_lo
	v_cmp_nlt_f32_e32 vcc_lo, 0x42b17218, v11
	v_dual_cndmask_b32 v11, 0x7f800000, v12 :: v_dual_add_f32 v12, v13, v10
	s_delay_alu instid0(VALU_DEP_1)
	v_add_f32_e32 v12, v12, v11
	ds_bpermute_b32 v13, v3, v12
	s_waitcnt lgkmcnt(0)
	v_add_f32_e32 v12, v12, v13
	ds_bpermute_b32 v13, v4, v12
	s_waitcnt lgkmcnt(0)
	v_add_f32_e32 v12, v12, v13
	ds_bpermute_b32 v13, v5, v12
	s_waitcnt lgkmcnt(0)
	v_add_f32_e32 v12, v12, v13
	s_delay_alu instid0(VALU_DEP_1) | instskip(SKIP_1) | instid1(VALU_DEP_2)
	v_div_scale_f32 v13, null, v12, v12, 1.0
	v_div_scale_f32 v16, vcc_lo, 1.0, v12, 1.0
	v_rcp_f32_e32 v14, v13
	s_waitcnt_depctr 0xfff
	v_fma_f32 v15, -v13, v14, 1.0
	s_delay_alu instid0(VALU_DEP_1) | instskip(NEXT) | instid1(VALU_DEP_1)
	v_fmac_f32_e32 v14, v15, v14
	v_mul_f32_e32 v15, v16, v14
	s_delay_alu instid0(VALU_DEP_1) | instskip(NEXT) | instid1(VALU_DEP_1)
	v_fma_f32 v17, -v13, v15, v16
	v_fmac_f32_e32 v15, v17, v14
	s_delay_alu instid0(VALU_DEP_1) | instskip(NEXT) | instid1(VALU_DEP_1)
	v_fma_f32 v13, -v13, v15, v16
	v_div_fmas_f32 v13, v13, v14, v15
	s_delay_alu instid0(VALU_DEP_1) | instskip(NEXT) | instid1(VALU_DEP_1)
	v_div_fixup_f32 v12, v13, v12, 1.0
	v_mul_f32_e32 v6, v12, v8
	v_mul_f32_e32 v7, v12, v9
	;; [unrolled: 1-line block ×4, first 2 shown]
	ds_store_b128 v0, v[6:9]
	s_cbranch_scc1 .LBB55_22
; %bb.4:
	s_load_b128 s[8:11], s[2:3], 0x20
	v_mul_lo_u32 v6, v1, s4
	v_dual_mov_b32 v8, 0xc61c4000 :: v_dual_lshlrev_b32 v7, 2, v2
	v_cmp_eq_u32_e32 vcc_lo, 0, v2
	s_branch .LBB55_6
.LBB55_5:                               ;   in Loop: Header=BB55_6 Depth=1
	s_or_b32 exec_lo, exec_lo, s0
	v_add_nc_u32_e32 v1, s14, v1
	s_cmp_lg_u32 s4, s7
	s_cbranch_scc0 .LBB55_22
.LBB55_6:                               ; =>This Inner Loop Header: Depth=1
	ds_load_b128 v[9:12], v0
	s_mov_b32 s3, exec_lo
	s_waitcnt lgkmcnt(0)
	v_cmp_gt_f32_e64 s0, v10, v9
	s_delay_alu instid0(VALU_DEP_1) | instskip(SKIP_1) | instid1(VALU_DEP_2)
	v_cndmask_b32_e64 v9, v9, v10, s0
	v_cndmask_b32_e64 v10, 0, 1, s0
	v_cmp_gt_f32_e64 s0, v11, v9
	s_delay_alu instid0(VALU_DEP_1) | instskip(NEXT) | instid1(VALU_DEP_3)
	v_cndmask_b32_e64 v9, v9, v11, s0
	v_cndmask_b32_e64 v11, v10, 2, s0
	s_delay_alu instid0(VALU_DEP_2) | instskip(NEXT) | instid1(VALU_DEP_1)
	v_cmp_gt_f32_e64 s0, v12, v9
	v_cndmask_b32_e64 v10, v9, v12, s0
	s_delay_alu instid0(VALU_DEP_3)
	v_cndmask_b32_e64 v9, v11, 3, s0
	ds_bpermute_b32 v11, v3, v10
	v_or_b32_e32 v9, v7, v9
	ds_bpermute_b32 v12, v3, v9
	s_waitcnt lgkmcnt(1)
	v_cmp_lt_f32_e64 s2, v10, v11
	v_cmpx_nlt_f32_e32 v10, v11
	s_cbranch_execz .LBB55_8
; %bb.7:                                ;   in Loop: Header=BB55_6 Depth=1
	v_cmp_eq_f32_e64 s0, v10, v11
	s_waitcnt lgkmcnt(0)
	v_cmp_lt_i32_e64 s1, v12, v9
	s_delay_alu instid0(VALU_DEP_1) | instskip(SKIP_2) | instid1(SALU_CYCLE_1)
	s_and_b32 s0, s0, s1
	s_and_not1_b32 s1, s2, exec_lo
	s_and_b32 s0, s0, exec_lo
	s_or_b32 s2, s1, s0
.LBB55_8:                               ;   in Loop: Header=BB55_6 Depth=1
	s_or_b32 exec_lo, exec_lo, s3
	s_delay_alu instid0(VALU_DEP_2)
	s_and_saveexec_b32 s0, s2
	s_cbranch_execz .LBB55_10
; %bb.9:                                ;   in Loop: Header=BB55_6 Depth=1
	s_waitcnt lgkmcnt(0)
	v_dual_mov_b32 v10, v11 :: v_dual_mov_b32 v9, v12
.LBB55_10:                              ;   in Loop: Header=BB55_6 Depth=1
	s_or_b32 exec_lo, exec_lo, s0
	s_waitcnt lgkmcnt(0)
	ds_bpermute_b32 v12, v4, v10
	ds_bpermute_b32 v11, v4, v9
	s_mov_b32 s3, exec_lo
	s_waitcnt lgkmcnt(1)
	v_cmp_lt_f32_e64 s2, v10, v12
	v_cmpx_nlt_f32_e32 v10, v12
	s_cbranch_execz .LBB55_12
; %bb.11:                               ;   in Loop: Header=BB55_6 Depth=1
	v_cmp_eq_f32_e64 s0, v10, v12
	s_waitcnt lgkmcnt(0)
	v_cmp_lt_i32_e64 s1, v11, v9
	s_delay_alu instid0(VALU_DEP_1) | instskip(SKIP_2) | instid1(SALU_CYCLE_1)
	s_and_b32 s0, s0, s1
	s_and_not1_b32 s1, s2, exec_lo
	s_and_b32 s0, s0, exec_lo
	s_or_b32 s2, s1, s0
.LBB55_12:                              ;   in Loop: Header=BB55_6 Depth=1
	s_or_b32 exec_lo, exec_lo, s3
	s_delay_alu instid0(VALU_DEP_2)
	s_and_saveexec_b32 s0, s2
	s_cbranch_execz .LBB55_14
; %bb.13:                               ;   in Loop: Header=BB55_6 Depth=1
	s_waitcnt lgkmcnt(0)
	v_dual_mov_b32 v10, v12 :: v_dual_mov_b32 v9, v11
.LBB55_14:                              ;   in Loop: Header=BB55_6 Depth=1
	s_or_b32 exec_lo, exec_lo, s0
	s_waitcnt lgkmcnt(0)
	ds_bpermute_b32 v11, v5, v10
	ds_bpermute_b32 v12, v5, v9
	s_mov_b32 s3, exec_lo
	s_waitcnt lgkmcnt(1)
	v_cmp_lt_f32_e64 s2, v10, v11
	v_cmpx_nlt_f32_e32 v10, v11
	s_cbranch_execnz .LBB55_20
; %bb.15:                               ;   in Loop: Header=BB55_6 Depth=1
	s_or_b32 exec_lo, exec_lo, s3
	s_delay_alu instid0(VALU_DEP_2)
	s_and_saveexec_b32 s0, s2
	s_cbranch_execnz .LBB55_21
.LBB55_16:                              ;   in Loop: Header=BB55_6 Depth=1
	s_or_b32 exec_lo, exec_lo, s0
	s_and_saveexec_b32 s2, vcc_lo
	s_cbranch_execz .LBB55_18
.LBB55_17:                              ;   in Loop: Header=BB55_6 Depth=1
	v_add_nc_u32_e32 v11, s7, v6
	v_subrev_nc_u32_e32 v15, s5, v9
	v_cmp_le_i32_e64 s0, s5, v9
	v_cmp_gt_i32_e64 s1, s6, v9
	s_waitcnt lgkmcnt(0)
	v_ashrrev_i32_e32 v12, 31, v11
	v_ashrrev_i32_e32 v16, 31, v15
	s_delay_alu instid0(VALU_DEP_3) | instskip(NEXT) | instid1(SALU_CYCLE_1)
	s_and_b32 s0, s0, s1
	s_and_b32 s0, s15, s0
	s_delay_alu instid0(VALU_DEP_2) | instskip(SKIP_3) | instid1(VALU_DEP_4)
	v_lshlrev_b64 v[13:14], 2, v[11:12]
	v_lshlrev_b64 v[11:12], 3, v[11:12]
	v_cndmask_b32_e64 v16, 0, v16, s0
	v_cndmask_b32_e64 v15, 32, v15, s0
	v_add_co_u32 v17, s0, s12, v13
	s_delay_alu instid0(VALU_DEP_1) | instskip(SKIP_1) | instid1(VALU_DEP_1)
	v_add_co_ci_u32_e64 v18, s0, s13, v14, s0
	v_add_co_u32 v11, s0, s8, v11
	v_add_co_ci_u32_e64 v12, s0, s9, v12, s0
	v_add_co_u32 v13, s0, s10, v13
	s_delay_alu instid0(VALU_DEP_1)
	v_add_co_ci_u32_e64 v14, s0, s11, v14, s0
	global_store_b32 v[17:18], v10, off
	global_store_b64 v[11:12], v[15:16], off
	global_store_b32 v[13:14], v1, off
.LBB55_18:                              ;   in Loop: Header=BB55_6 Depth=1
	s_or_b32 exec_lo, exec_lo, s2
	v_ashrrev_i32_e32 v11, 31, v9
	s_add_i32 s7, s7, 1
	s_delay_alu instid0(SALU_CYCLE_1) | instskip(SKIP_1) | instid1(VALU_DEP_1)
	s_cmp_lt_i32 s7, s4
	s_cselect_b32 s1, -1, 0
	v_lshrrev_b32_e32 v10, 30, v11
	s_delay_alu instid0(VALU_DEP_1) | instskip(NEXT) | instid1(VALU_DEP_1)
	v_add_nc_u32_e32 v10, v9, v10
	v_ashrrev_i32_e32 v10, 2, v10
	s_waitcnt lgkmcnt(0)
	s_delay_alu instid0(VALU_DEP_1) | instskip(NEXT) | instid1(VALU_DEP_1)
	v_lshrrev_b32_e32 v12, 29, v10
	v_add_nc_u32_e32 v12, v10, v12
	s_delay_alu instid0(VALU_DEP_1) | instskip(NEXT) | instid1(VALU_DEP_1)
	v_and_b32_e32 v12, -8, v12
	v_sub_nc_u32_e32 v12, v10, v12
	s_delay_alu instid0(VALU_DEP_1) | instskip(NEXT) | instid1(VALU_DEP_1)
	v_cmp_eq_u32_e64 s0, v2, v12
	s_and_b32 s1, s1, s0
	s_delay_alu instid0(SALU_CYCLE_1)
	s_and_saveexec_b32 s0, s1
	s_cbranch_execz .LBB55_5
; %bb.19:                               ;   in Loop: Header=BB55_6 Depth=1
	v_lshrrev_b32_e32 v11, 27, v11
	v_lshlrev_b32_e32 v10, 2, v10
	s_delay_alu instid0(VALU_DEP_2) | instskip(NEXT) | instid1(VALU_DEP_2)
	v_add_nc_u32_e32 v11, v9, v11
	v_sub_nc_u32_e32 v9, v9, v10
	s_delay_alu instid0(VALU_DEP_2) | instskip(NEXT) | instid1(VALU_DEP_1)
	v_ashrrev_i32_e32 v11, 5, v11
	v_lshl_add_u32 v9, v11, 2, v9
	s_delay_alu instid0(VALU_DEP_1)
	v_lshl_add_u32 v9, v9, 2, v0
	ds_store_b32 v9, v8
	s_branch .LBB55_5
.LBB55_20:                              ;   in Loop: Header=BB55_6 Depth=1
	v_cmp_eq_f32_e64 s0, v10, v11
	s_waitcnt lgkmcnt(0)
	v_cmp_lt_i32_e64 s1, v12, v9
	s_delay_alu instid0(VALU_DEP_1) | instskip(SKIP_2) | instid1(SALU_CYCLE_1)
	s_and_b32 s0, s0, s1
	s_and_not1_b32 s1, s2, exec_lo
	s_and_b32 s0, s0, exec_lo
	s_or_b32 s2, s1, s0
	s_or_b32 exec_lo, exec_lo, s3
	s_and_saveexec_b32 s0, s2
	s_cbranch_execz .LBB55_16
.LBB55_21:                              ;   in Loop: Header=BB55_6 Depth=1
	s_waitcnt lgkmcnt(0)
	v_dual_mov_b32 v10, v11 :: v_dual_mov_b32 v9, v12
	s_or_b32 exec_lo, exec_lo, s0
	s_and_saveexec_b32 s2, vcc_lo
	s_cbranch_execnz .LBB55_17
	s_branch .LBB55_18
.LBB55_22:
	s_nop 0
	s_sendmsg sendmsg(MSG_DEALLOC_VGPRS)
	s_endpgm
	.section	.rodata,"a",@progbits
	.p2align	6, 0x0
	.amdhsa_kernel _ZN4vllm3moe17topkGatingSoftmaxILi4ELi32ELi4ELi16ELi64ElEEvPKfPKbPfiPT4_Piiii
		.amdhsa_group_segment_fixed_size 4096
		.amdhsa_private_segment_fixed_size 0
		.amdhsa_kernarg_size 60
		.amdhsa_user_sgpr_count 15
		.amdhsa_user_sgpr_dispatch_ptr 1
		.amdhsa_user_sgpr_queue_ptr 0
		.amdhsa_user_sgpr_kernarg_segment_ptr 1
		.amdhsa_user_sgpr_dispatch_id 0
		.amdhsa_user_sgpr_private_segment_size 0
		.amdhsa_wavefront_size32 1
		.amdhsa_uses_dynamic_stack 0
		.amdhsa_enable_private_segment 0
		.amdhsa_system_sgpr_workgroup_id_x 1
		.amdhsa_system_sgpr_workgroup_id_y 0
		.amdhsa_system_sgpr_workgroup_id_z 0
		.amdhsa_system_sgpr_workgroup_info 0
		.amdhsa_system_vgpr_workitem_id 2
		.amdhsa_next_free_vgpr 24
		.amdhsa_next_free_sgpr 16
		.amdhsa_reserve_vcc 1
		.amdhsa_float_round_mode_32 0
		.amdhsa_float_round_mode_16_64 0
		.amdhsa_float_denorm_mode_32 3
		.amdhsa_float_denorm_mode_16_64 3
		.amdhsa_dx10_clamp 1
		.amdhsa_ieee_mode 1
		.amdhsa_fp16_overflow 0
		.amdhsa_workgroup_processor_mode 1
		.amdhsa_memory_ordered 1
		.amdhsa_forward_progress 0
		.amdhsa_shared_vgpr_count 0
		.amdhsa_exception_fp_ieee_invalid_op 0
		.amdhsa_exception_fp_denorm_src 0
		.amdhsa_exception_fp_ieee_div_zero 0
		.amdhsa_exception_fp_ieee_overflow 0
		.amdhsa_exception_fp_ieee_underflow 0
		.amdhsa_exception_fp_ieee_inexact 0
		.amdhsa_exception_int_div_zero 0
	.end_amdhsa_kernel
	.section	.text._ZN4vllm3moe17topkGatingSoftmaxILi4ELi32ELi4ELi16ELi64ElEEvPKfPKbPfiPT4_Piiii,"axG",@progbits,_ZN4vllm3moe17topkGatingSoftmaxILi4ELi32ELi4ELi16ELi64ElEEvPKfPKbPfiPT4_Piiii,comdat
.Lfunc_end55:
	.size	_ZN4vllm3moe17topkGatingSoftmaxILi4ELi32ELi4ELi16ELi64ElEEvPKfPKbPfiPT4_Piiii, .Lfunc_end55-_ZN4vllm3moe17topkGatingSoftmaxILi4ELi32ELi4ELi16ELi64ElEEvPKfPKbPfiPT4_Piiii
                                        ; -- End function
	.section	.AMDGPU.csdata,"",@progbits
; Kernel info:
; codeLenInByte = 1928
; NumSgprs: 18
; NumVgprs: 24
; ScratchSize: 0
; MemoryBound: 0
; FloatMode: 240
; IeeeMode: 1
; LDSByteSize: 4096 bytes/workgroup (compile time only)
; SGPRBlocks: 2
; VGPRBlocks: 2
; NumSGPRsForWavesPerEU: 18
; NumVGPRsForWavesPerEU: 24
; Occupancy: 16
; WaveLimiterHint : 0
; COMPUTE_PGM_RSRC2:SCRATCH_EN: 0
; COMPUTE_PGM_RSRC2:USER_SGPR: 15
; COMPUTE_PGM_RSRC2:TRAP_HANDLER: 0
; COMPUTE_PGM_RSRC2:TGID_X_EN: 1
; COMPUTE_PGM_RSRC2:TGID_Y_EN: 0
; COMPUTE_PGM_RSRC2:TGID_Z_EN: 0
; COMPUTE_PGM_RSRC2:TIDIG_COMP_CNT: 2
	.section	.text._ZN4vllm3moe17topkGatingSoftmaxILi4ELi32ELi4ELi16ELi32ElEEvPKfPKbPfiPT4_Piiii,"axG",@progbits,_ZN4vllm3moe17topkGatingSoftmaxILi4ELi32ELi4ELi16ELi32ElEEvPKfPKbPfiPT4_Piiii,comdat
	.protected	_ZN4vllm3moe17topkGatingSoftmaxILi4ELi32ELi4ELi16ELi32ElEEvPKfPKbPfiPT4_Piiii ; -- Begin function _ZN4vllm3moe17topkGatingSoftmaxILi4ELi32ELi4ELi16ELi32ElEEvPKfPKbPfiPT4_Piiii
	.globl	_ZN4vllm3moe17topkGatingSoftmaxILi4ELi32ELi4ELi16ELi32ElEEvPKfPKbPfiPT4_Piiii
	.p2align	8
	.type	_ZN4vllm3moe17topkGatingSoftmaxILi4ELi32ELi4ELi16ELi32ElEEvPKfPKbPfiPT4_Piiii,@function
_ZN4vllm3moe17topkGatingSoftmaxILi4ELi32ELi4ELi16ELi32ElEEvPKfPKbPfiPT4_Piiii: ; @_ZN4vllm3moe17topkGatingSoftmaxILi4ELi32ELi4ELi16ELi32ElEEvPKfPKbPfiPT4_Piiii
; %bb.0:
	s_load_b32 s14, s[2:3], 0x18
	v_bfe_u32 v7, v0, 10, 10
	v_and_b32_e32 v6, 0x3ff, v0
	s_lshl_b32 s4, s15, 4
	s_delay_alu instid0(VALU_DEP_2) | instskip(NEXT) | instid1(VALU_DEP_2)
	v_lshlrev_b32_e32 v1, 2, v7
	v_lshrrev_b32_e32 v2, 3, v6
	s_delay_alu instid0(VALU_DEP_1) | instskip(SKIP_2) | instid1(VALU_DEP_1)
	v_add3_u32 v1, s4, v1, v2
	s_mov_b32 s4, exec_lo
	s_waitcnt lgkmcnt(0)
	v_cmpx_gt_i32_e64 s14, v1
	s_cbranch_execz .LBB56_22
; %bb.1:
	s_clause 0x1
	s_load_b128 s[4:7], s[2:3], 0x0
	s_load_b64 s[12:13], s[2:3], 0x10
	s_mov_b32 s15, -1
	s_waitcnt lgkmcnt(0)
	s_cmp_eq_u64 s[6:7], 0
	s_cbranch_scc1 .LBB56_3
; %bb.2:
	v_ashrrev_i32_e32 v3, 31, v1
	v_add_co_u32 v2, vcc_lo, s6, v1
	s_delay_alu instid0(VALU_DEP_2) | instskip(SKIP_3) | instid1(VALU_DEP_1)
	v_add_co_ci_u32_e32 v3, vcc_lo, s7, v3, vcc_lo
	global_load_u8 v2, v[2:3], off
	s_waitcnt vmcnt(0)
	v_and_b32_e32 v2, 1, v2
	v_cmp_eq_u32_e32 vcc_lo, 1, v2
	s_xor_b32 s6, vcc_lo, -1
	s_delay_alu instid0(SALU_CYCLE_1)
	s_or_not1_b32 s15, s6, exec_lo
.LBB56_3:
	v_lshlrev_b32_e32 v3, 5, v1
	v_and_b32_e32 v2, 7, v6
	s_load_b64 s[0:1], s[0:1], 0x4
	v_bfe_u32 v0, v0, 20, 10
	s_delay_alu instid0(VALU_DEP_3) | instskip(NEXT) | instid1(VALU_DEP_3)
	v_ashrrev_i32_e32 v4, 31, v3
	v_lshlrev_b32_e32 v5, 4, v2
	s_delay_alu instid0(VALU_DEP_2) | instskip(NEXT) | instid1(VALU_DEP_1)
	v_lshlrev_b64 v[3:4], 2, v[3:4]
	v_add_co_u32 v3, vcc_lo, s4, v3
	s_delay_alu instid0(VALU_DEP_2) | instskip(SKIP_1) | instid1(VALU_DEP_2)
	v_add_co_ci_u32_e32 v4, vcc_lo, s5, v4, vcc_lo
	s_load_b128 s[4:7], s[2:3], 0x30
	v_add_co_u32 v3, vcc_lo, v3, v5
	s_delay_alu instid0(VALU_DEP_2)
	v_add_co_ci_u32_e32 v4, vcc_lo, 0, v4, vcc_lo
	v_mbcnt_lo_u32_b32 v5, -1, 0
	s_waitcnt lgkmcnt(0)
	v_mul_u32_u24_e32 v7, s1, v7
	s_lshr_b32 s0, s0, 16
	global_load_b128 v[8:11], v[3:4], off
	s_mul_i32 s0, s0, s1
	v_xor_b32_e32 v14, 2, v5
	v_and_b32_e32 v3, 24, v5
	v_xor_b32_e32 v4, 4, v5
	v_mad_u32_u24 v6, s0, v6, v7
	s_mov_b32 s7, 0
	s_delay_alu instid0(VALU_DEP_3) | instskip(NEXT) | instid1(VALU_DEP_2)
	v_add_nc_u32_e32 v12, 8, v3
	v_add_lshl_u32 v0, v6, v0, 4
	s_cmp_lt_i32 s4, 1
	s_waitcnt vmcnt(0)
	v_max_f32_e32 v13, v8, v8
	v_cmp_lt_i32_e32 vcc_lo, v4, v12
	v_max_f32_e32 v3, v9, v9
	v_cndmask_b32_e32 v4, v5, v4, vcc_lo
	v_cmp_lt_i32_e32 vcc_lo, v14, v12
	v_cndmask_b32_e32 v14, v5, v14, vcc_lo
	s_delay_alu instid0(VALU_DEP_4) | instskip(NEXT) | instid1(VALU_DEP_4)
	v_max_f32_e32 v13, v13, v3
	v_lshlrev_b32_e32 v3, 2, v4
	s_delay_alu instid0(VALU_DEP_2) | instskip(SKIP_3) | instid1(VALU_DEP_1)
	v_max3_f32 v13, v13, v10, v11
	ds_bpermute_b32 v4, v3, v13
	s_waitcnt lgkmcnt(0)
	v_dual_max_f32 v15, v4, v4 :: v_dual_lshlrev_b32 v4, 2, v14
	v_max_f32_e32 v13, v13, v15
	v_xor_b32_e32 v15, 1, v5
	ds_bpermute_b32 v14, v4, v13
	v_cmp_lt_i32_e32 vcc_lo, v15, v12
	s_waitcnt lgkmcnt(0)
	v_max_f32_e32 v12, v14, v14
	s_delay_alu instid0(VALU_DEP_1) | instskip(SKIP_1) | instid1(VALU_DEP_1)
	v_max_f32_e32 v12, v13, v12
	v_cndmask_b32_e32 v5, v5, v15, vcc_lo
	v_lshlrev_b32_e32 v5, 2, v5
	ds_bpermute_b32 v13, v5, v12
	s_waitcnt lgkmcnt(0)
	v_max_f32_e32 v13, v13, v13
	s_delay_alu instid0(VALU_DEP_1) | instskip(NEXT) | instid1(VALU_DEP_1)
	v_max_f32_e32 v12, v12, v13
	v_sub_f32_e32 v8, v8, v12
	v_sub_f32_e32 v9, v9, v12
	;; [unrolled: 1-line block ×4, first 2 shown]
	s_delay_alu instid0(VALU_DEP_4) | instskip(SKIP_1) | instid1(VALU_DEP_4)
	v_mul_f32_e32 v12, 0x3fb8aa3b, v8
	v_cmp_ngt_f32_e32 vcc_lo, 0xc2ce8ed0, v8
	v_mul_f32_e32 v14, 0x3fb8aa3b, v10
	s_delay_alu instid0(VALU_DEP_3) | instskip(SKIP_1) | instid1(VALU_DEP_3)
	v_fma_f32 v16, 0x3fb8aa3b, v8, -v12
	v_rndne_f32_e32 v17, v12
	v_rndne_f32_e32 v21, v14
	v_fma_f32 v20, 0x3fb8aa3b, v10, -v14
	s_delay_alu instid0(VALU_DEP_4) | instskip(NEXT) | instid1(VALU_DEP_4)
	v_fmac_f32_e32 v16, 0x32a5705f, v8
	v_sub_f32_e32 v12, v12, v17
	v_mul_f32_e32 v13, 0x3fb8aa3b, v9
	v_sub_f32_e32 v14, v14, v21
	s_delay_alu instid0(VALU_DEP_3) | instskip(NEXT) | instid1(VALU_DEP_3)
	v_add_f32_e32 v12, v12, v16
	v_fma_f32 v18, 0x3fb8aa3b, v9, -v13
	v_rndne_f32_e32 v19, v13
	v_cvt_i32_f32_e32 v16, v17
	s_delay_alu instid0(VALU_DEP_4) | instskip(NEXT) | instid1(VALU_DEP_3)
	v_exp_f32_e32 v12, v12
	v_fmac_f32_e32 v18, 0x32a5705f, v9
	v_mul_f32_e32 v15, 0x3fb8aa3b, v11
	v_sub_f32_e32 v13, v13, v19
	v_cvt_i32_f32_e32 v17, v19
	s_delay_alu instid0(VALU_DEP_3) | instskip(SKIP_3) | instid1(TRANS32_DEP_1)
	v_fma_f32 v22, 0x3fb8aa3b, v11, -v15
	v_rndne_f32_e32 v23, v15
	v_fmac_f32_e32 v20, 0x32a5705f, v10
	v_add_f32_e32 v13, v13, v18
	v_ldexp_f32 v12, v12, v16
	v_fmac_f32_e32 v22, 0x32a5705f, v11
	s_delay_alu instid0(VALU_DEP_4) | instskip(NEXT) | instid1(VALU_DEP_4)
	v_dual_sub_f32 v15, v15, v23 :: v_dual_add_f32 v14, v14, v20
	v_exp_f32_e32 v13, v13
	v_cvt_i32_f32_e32 v18, v21
	v_cvt_i32_f32_e32 v19, v23
	s_delay_alu instid0(VALU_DEP_3) | instskip(SKIP_1) | instid1(VALU_DEP_1)
	v_add_f32_e32 v15, v15, v22
	v_exp_f32_e32 v14, v14
	v_exp_f32_e32 v15, v15
	s_delay_alu instid0(TRANS32_DEP_3)
	v_ldexp_f32 v13, v13, v17
	v_cndmask_b32_e32 v12, 0, v12, vcc_lo
	v_cmp_ngt_f32_e32 vcc_lo, 0xc2ce8ed0, v9
	s_waitcnt_depctr 0xfff
	v_ldexp_f32 v14, v14, v18
	v_cndmask_b32_e32 v13, 0, v13, vcc_lo
	v_cmp_ngt_f32_e32 vcc_lo, 0xc2ce8ed0, v10
	v_ldexp_f32 v15, v15, v19
	s_delay_alu instid0(VALU_DEP_4)
	v_cndmask_b32_e32 v14, 0, v14, vcc_lo
	v_cmp_nlt_f32_e32 vcc_lo, 0x42b17218, v8
	v_cndmask_b32_e32 v8, 0x7f800000, v12, vcc_lo
	v_cmp_nlt_f32_e32 vcc_lo, 0x42b17218, v9
	v_cndmask_b32_e32 v9, 0x7f800000, v13, vcc_lo
	v_cmp_ngt_f32_e32 vcc_lo, 0xc2ce8ed0, v11
	s_delay_alu instid0(VALU_DEP_2) | instskip(SKIP_3) | instid1(VALU_DEP_2)
	v_dual_add_f32 v13, v8, v9 :: v_dual_cndmask_b32 v12, 0, v15
	v_cmp_nlt_f32_e32 vcc_lo, 0x42b17218, v10
	v_cndmask_b32_e32 v10, 0x7f800000, v14, vcc_lo
	v_cmp_nlt_f32_e32 vcc_lo, 0x42b17218, v11
	v_dual_cndmask_b32 v11, 0x7f800000, v12 :: v_dual_add_f32 v12, v13, v10
	s_delay_alu instid0(VALU_DEP_1)
	v_add_f32_e32 v12, v12, v11
	ds_bpermute_b32 v13, v3, v12
	s_waitcnt lgkmcnt(0)
	v_add_f32_e32 v12, v12, v13
	ds_bpermute_b32 v13, v4, v12
	s_waitcnt lgkmcnt(0)
	v_add_f32_e32 v12, v12, v13
	ds_bpermute_b32 v13, v5, v12
	s_waitcnt lgkmcnt(0)
	v_add_f32_e32 v12, v12, v13
	s_delay_alu instid0(VALU_DEP_1) | instskip(SKIP_1) | instid1(VALU_DEP_2)
	v_div_scale_f32 v13, null, v12, v12, 1.0
	v_div_scale_f32 v16, vcc_lo, 1.0, v12, 1.0
	v_rcp_f32_e32 v14, v13
	s_waitcnt_depctr 0xfff
	v_fma_f32 v15, -v13, v14, 1.0
	s_delay_alu instid0(VALU_DEP_1) | instskip(NEXT) | instid1(VALU_DEP_1)
	v_fmac_f32_e32 v14, v15, v14
	v_mul_f32_e32 v15, v16, v14
	s_delay_alu instid0(VALU_DEP_1) | instskip(NEXT) | instid1(VALU_DEP_1)
	v_fma_f32 v17, -v13, v15, v16
	v_fmac_f32_e32 v15, v17, v14
	s_delay_alu instid0(VALU_DEP_1) | instskip(NEXT) | instid1(VALU_DEP_1)
	v_fma_f32 v13, -v13, v15, v16
	v_div_fmas_f32 v13, v13, v14, v15
	s_delay_alu instid0(VALU_DEP_1) | instskip(NEXT) | instid1(VALU_DEP_1)
	v_div_fixup_f32 v12, v13, v12, 1.0
	v_mul_f32_e32 v6, v12, v8
	v_mul_f32_e32 v7, v12, v9
	v_mul_f32_e32 v9, v12, v11
	v_mul_f32_e32 v8, v12, v10
	ds_store_b128 v0, v[6:9]
	s_cbranch_scc1 .LBB56_22
; %bb.4:
	s_load_b128 s[8:11], s[2:3], 0x20
	v_mul_lo_u32 v6, v1, s4
	v_dual_mov_b32 v8, 0xc61c4000 :: v_dual_lshlrev_b32 v7, 2, v2
	v_cmp_eq_u32_e32 vcc_lo, 0, v2
	s_branch .LBB56_6
.LBB56_5:                               ;   in Loop: Header=BB56_6 Depth=1
	s_or_b32 exec_lo, exec_lo, s0
	v_add_nc_u32_e32 v1, s14, v1
	s_cmp_lg_u32 s4, s7
	s_cbranch_scc0 .LBB56_22
.LBB56_6:                               ; =>This Inner Loop Header: Depth=1
	ds_load_b128 v[9:12], v0
	s_mov_b32 s3, exec_lo
	s_waitcnt lgkmcnt(0)
	v_cmp_gt_f32_e64 s0, v10, v9
	s_delay_alu instid0(VALU_DEP_1) | instskip(SKIP_1) | instid1(VALU_DEP_2)
	v_cndmask_b32_e64 v9, v9, v10, s0
	v_cndmask_b32_e64 v10, 0, 1, s0
	v_cmp_gt_f32_e64 s0, v11, v9
	s_delay_alu instid0(VALU_DEP_1) | instskip(NEXT) | instid1(VALU_DEP_3)
	v_cndmask_b32_e64 v9, v9, v11, s0
	v_cndmask_b32_e64 v11, v10, 2, s0
	s_delay_alu instid0(VALU_DEP_2) | instskip(NEXT) | instid1(VALU_DEP_1)
	v_cmp_gt_f32_e64 s0, v12, v9
	v_cndmask_b32_e64 v10, v9, v12, s0
	s_delay_alu instid0(VALU_DEP_3)
	v_cndmask_b32_e64 v9, v11, 3, s0
	ds_bpermute_b32 v11, v3, v10
	v_or_b32_e32 v9, v7, v9
	ds_bpermute_b32 v12, v3, v9
	s_waitcnt lgkmcnt(1)
	v_cmp_lt_f32_e64 s2, v10, v11
	v_cmpx_nlt_f32_e32 v10, v11
	s_cbranch_execz .LBB56_8
; %bb.7:                                ;   in Loop: Header=BB56_6 Depth=1
	v_cmp_eq_f32_e64 s0, v10, v11
	s_waitcnt lgkmcnt(0)
	v_cmp_lt_i32_e64 s1, v12, v9
	s_delay_alu instid0(VALU_DEP_1) | instskip(SKIP_2) | instid1(SALU_CYCLE_1)
	s_and_b32 s0, s0, s1
	s_and_not1_b32 s1, s2, exec_lo
	s_and_b32 s0, s0, exec_lo
	s_or_b32 s2, s1, s0
.LBB56_8:                               ;   in Loop: Header=BB56_6 Depth=1
	s_or_b32 exec_lo, exec_lo, s3
	s_delay_alu instid0(VALU_DEP_2)
	s_and_saveexec_b32 s0, s2
	s_cbranch_execz .LBB56_10
; %bb.9:                                ;   in Loop: Header=BB56_6 Depth=1
	s_waitcnt lgkmcnt(0)
	v_dual_mov_b32 v10, v11 :: v_dual_mov_b32 v9, v12
.LBB56_10:                              ;   in Loop: Header=BB56_6 Depth=1
	s_or_b32 exec_lo, exec_lo, s0
	s_waitcnt lgkmcnt(0)
	ds_bpermute_b32 v12, v4, v10
	ds_bpermute_b32 v11, v4, v9
	s_mov_b32 s3, exec_lo
	s_waitcnt lgkmcnt(1)
	v_cmp_lt_f32_e64 s2, v10, v12
	v_cmpx_nlt_f32_e32 v10, v12
	s_cbranch_execz .LBB56_12
; %bb.11:                               ;   in Loop: Header=BB56_6 Depth=1
	v_cmp_eq_f32_e64 s0, v10, v12
	s_waitcnt lgkmcnt(0)
	v_cmp_lt_i32_e64 s1, v11, v9
	s_delay_alu instid0(VALU_DEP_1) | instskip(SKIP_2) | instid1(SALU_CYCLE_1)
	s_and_b32 s0, s0, s1
	s_and_not1_b32 s1, s2, exec_lo
	s_and_b32 s0, s0, exec_lo
	s_or_b32 s2, s1, s0
.LBB56_12:                              ;   in Loop: Header=BB56_6 Depth=1
	s_or_b32 exec_lo, exec_lo, s3
	s_delay_alu instid0(VALU_DEP_2)
	s_and_saveexec_b32 s0, s2
	s_cbranch_execz .LBB56_14
; %bb.13:                               ;   in Loop: Header=BB56_6 Depth=1
	s_waitcnt lgkmcnt(0)
	v_dual_mov_b32 v10, v12 :: v_dual_mov_b32 v9, v11
.LBB56_14:                              ;   in Loop: Header=BB56_6 Depth=1
	s_or_b32 exec_lo, exec_lo, s0
	s_waitcnt lgkmcnt(0)
	ds_bpermute_b32 v11, v5, v10
	ds_bpermute_b32 v12, v5, v9
	s_mov_b32 s3, exec_lo
	s_waitcnt lgkmcnt(1)
	v_cmp_lt_f32_e64 s2, v10, v11
	v_cmpx_nlt_f32_e32 v10, v11
	s_cbranch_execnz .LBB56_20
; %bb.15:                               ;   in Loop: Header=BB56_6 Depth=1
	s_or_b32 exec_lo, exec_lo, s3
	s_delay_alu instid0(VALU_DEP_2)
	s_and_saveexec_b32 s0, s2
	s_cbranch_execnz .LBB56_21
.LBB56_16:                              ;   in Loop: Header=BB56_6 Depth=1
	s_or_b32 exec_lo, exec_lo, s0
	s_and_saveexec_b32 s2, vcc_lo
	s_cbranch_execz .LBB56_18
.LBB56_17:                              ;   in Loop: Header=BB56_6 Depth=1
	v_add_nc_u32_e32 v11, s7, v6
	v_subrev_nc_u32_e32 v15, s5, v9
	v_cmp_le_i32_e64 s0, s5, v9
	v_cmp_gt_i32_e64 s1, s6, v9
	s_waitcnt lgkmcnt(0)
	v_ashrrev_i32_e32 v12, 31, v11
	v_ashrrev_i32_e32 v16, 31, v15
	s_delay_alu instid0(VALU_DEP_3) | instskip(NEXT) | instid1(SALU_CYCLE_1)
	s_and_b32 s0, s0, s1
	s_and_b32 s0, s15, s0
	s_delay_alu instid0(VALU_DEP_2) | instskip(SKIP_3) | instid1(VALU_DEP_4)
	v_lshlrev_b64 v[13:14], 2, v[11:12]
	v_lshlrev_b64 v[11:12], 3, v[11:12]
	v_cndmask_b32_e64 v16, 0, v16, s0
	v_cndmask_b32_e64 v15, 32, v15, s0
	v_add_co_u32 v17, s0, s12, v13
	s_delay_alu instid0(VALU_DEP_1) | instskip(SKIP_1) | instid1(VALU_DEP_1)
	v_add_co_ci_u32_e64 v18, s0, s13, v14, s0
	v_add_co_u32 v11, s0, s8, v11
	v_add_co_ci_u32_e64 v12, s0, s9, v12, s0
	v_add_co_u32 v13, s0, s10, v13
	s_delay_alu instid0(VALU_DEP_1)
	v_add_co_ci_u32_e64 v14, s0, s11, v14, s0
	global_store_b32 v[17:18], v10, off
	global_store_b64 v[11:12], v[15:16], off
	global_store_b32 v[13:14], v1, off
.LBB56_18:                              ;   in Loop: Header=BB56_6 Depth=1
	s_or_b32 exec_lo, exec_lo, s2
	v_ashrrev_i32_e32 v11, 31, v9
	s_add_i32 s7, s7, 1
	s_delay_alu instid0(SALU_CYCLE_1) | instskip(SKIP_1) | instid1(VALU_DEP_1)
	s_cmp_lt_i32 s7, s4
	s_cselect_b32 s1, -1, 0
	v_lshrrev_b32_e32 v10, 30, v11
	s_delay_alu instid0(VALU_DEP_1) | instskip(NEXT) | instid1(VALU_DEP_1)
	v_add_nc_u32_e32 v10, v9, v10
	v_ashrrev_i32_e32 v10, 2, v10
	s_waitcnt lgkmcnt(0)
	s_delay_alu instid0(VALU_DEP_1) | instskip(NEXT) | instid1(VALU_DEP_1)
	v_lshrrev_b32_e32 v12, 29, v10
	v_add_nc_u32_e32 v12, v10, v12
	s_delay_alu instid0(VALU_DEP_1) | instskip(NEXT) | instid1(VALU_DEP_1)
	v_and_b32_e32 v12, -8, v12
	v_sub_nc_u32_e32 v12, v10, v12
	s_delay_alu instid0(VALU_DEP_1) | instskip(NEXT) | instid1(VALU_DEP_1)
	v_cmp_eq_u32_e64 s0, v2, v12
	s_and_b32 s1, s1, s0
	s_delay_alu instid0(SALU_CYCLE_1)
	s_and_saveexec_b32 s0, s1
	s_cbranch_execz .LBB56_5
; %bb.19:                               ;   in Loop: Header=BB56_6 Depth=1
	v_lshrrev_b32_e32 v11, 27, v11
	v_lshlrev_b32_e32 v10, 2, v10
	s_delay_alu instid0(VALU_DEP_2) | instskip(NEXT) | instid1(VALU_DEP_2)
	v_add_nc_u32_e32 v11, v9, v11
	v_sub_nc_u32_e32 v9, v9, v10
	s_delay_alu instid0(VALU_DEP_2) | instskip(NEXT) | instid1(VALU_DEP_1)
	v_ashrrev_i32_e32 v11, 5, v11
	v_lshl_add_u32 v9, v11, 2, v9
	s_delay_alu instid0(VALU_DEP_1)
	v_lshl_add_u32 v9, v9, 2, v0
	ds_store_b32 v9, v8
	s_branch .LBB56_5
.LBB56_20:                              ;   in Loop: Header=BB56_6 Depth=1
	v_cmp_eq_f32_e64 s0, v10, v11
	s_waitcnt lgkmcnt(0)
	v_cmp_lt_i32_e64 s1, v12, v9
	s_delay_alu instid0(VALU_DEP_1) | instskip(SKIP_2) | instid1(SALU_CYCLE_1)
	s_and_b32 s0, s0, s1
	s_and_not1_b32 s1, s2, exec_lo
	s_and_b32 s0, s0, exec_lo
	s_or_b32 s2, s1, s0
	s_or_b32 exec_lo, exec_lo, s3
	s_and_saveexec_b32 s0, s2
	s_cbranch_execz .LBB56_16
.LBB56_21:                              ;   in Loop: Header=BB56_6 Depth=1
	s_waitcnt lgkmcnt(0)
	v_dual_mov_b32 v10, v11 :: v_dual_mov_b32 v9, v12
	s_or_b32 exec_lo, exec_lo, s0
	s_and_saveexec_b32 s2, vcc_lo
	s_cbranch_execnz .LBB56_17
	s_branch .LBB56_18
.LBB56_22:
	s_nop 0
	s_sendmsg sendmsg(MSG_DEALLOC_VGPRS)
	s_endpgm
	.section	.rodata,"a",@progbits
	.p2align	6, 0x0
	.amdhsa_kernel _ZN4vllm3moe17topkGatingSoftmaxILi4ELi32ELi4ELi16ELi32ElEEvPKfPKbPfiPT4_Piiii
		.amdhsa_group_segment_fixed_size 2048
		.amdhsa_private_segment_fixed_size 0
		.amdhsa_kernarg_size 60
		.amdhsa_user_sgpr_count 15
		.amdhsa_user_sgpr_dispatch_ptr 1
		.amdhsa_user_sgpr_queue_ptr 0
		.amdhsa_user_sgpr_kernarg_segment_ptr 1
		.amdhsa_user_sgpr_dispatch_id 0
		.amdhsa_user_sgpr_private_segment_size 0
		.amdhsa_wavefront_size32 1
		.amdhsa_uses_dynamic_stack 0
		.amdhsa_enable_private_segment 0
		.amdhsa_system_sgpr_workgroup_id_x 1
		.amdhsa_system_sgpr_workgroup_id_y 0
		.amdhsa_system_sgpr_workgroup_id_z 0
		.amdhsa_system_sgpr_workgroup_info 0
		.amdhsa_system_vgpr_workitem_id 2
		.amdhsa_next_free_vgpr 24
		.amdhsa_next_free_sgpr 16
		.amdhsa_reserve_vcc 1
		.amdhsa_float_round_mode_32 0
		.amdhsa_float_round_mode_16_64 0
		.amdhsa_float_denorm_mode_32 3
		.amdhsa_float_denorm_mode_16_64 3
		.amdhsa_dx10_clamp 1
		.amdhsa_ieee_mode 1
		.amdhsa_fp16_overflow 0
		.amdhsa_workgroup_processor_mode 1
		.amdhsa_memory_ordered 1
		.amdhsa_forward_progress 0
		.amdhsa_shared_vgpr_count 0
		.amdhsa_exception_fp_ieee_invalid_op 0
		.amdhsa_exception_fp_denorm_src 0
		.amdhsa_exception_fp_ieee_div_zero 0
		.amdhsa_exception_fp_ieee_overflow 0
		.amdhsa_exception_fp_ieee_underflow 0
		.amdhsa_exception_fp_ieee_inexact 0
		.amdhsa_exception_int_div_zero 0
	.end_amdhsa_kernel
	.section	.text._ZN4vllm3moe17topkGatingSoftmaxILi4ELi32ELi4ELi16ELi32ElEEvPKfPKbPfiPT4_Piiii,"axG",@progbits,_ZN4vllm3moe17topkGatingSoftmaxILi4ELi32ELi4ELi16ELi32ElEEvPKfPKbPfiPT4_Piiii,comdat
.Lfunc_end56:
	.size	_ZN4vllm3moe17topkGatingSoftmaxILi4ELi32ELi4ELi16ELi32ElEEvPKfPKbPfiPT4_Piiii, .Lfunc_end56-_ZN4vllm3moe17topkGatingSoftmaxILi4ELi32ELi4ELi16ELi32ElEEvPKfPKbPfiPT4_Piiii
                                        ; -- End function
	.section	.AMDGPU.csdata,"",@progbits
; Kernel info:
; codeLenInByte = 1920
; NumSgprs: 18
; NumVgprs: 24
; ScratchSize: 0
; MemoryBound: 0
; FloatMode: 240
; IeeeMode: 1
; LDSByteSize: 2048 bytes/workgroup (compile time only)
; SGPRBlocks: 2
; VGPRBlocks: 2
; NumSGPRsForWavesPerEU: 18
; NumVGPRsForWavesPerEU: 24
; Occupancy: 16
; WaveLimiterHint : 0
; COMPUTE_PGM_RSRC2:SCRATCH_EN: 0
; COMPUTE_PGM_RSRC2:USER_SGPR: 15
; COMPUTE_PGM_RSRC2:TRAP_HANDLER: 0
; COMPUTE_PGM_RSRC2:TGID_X_EN: 1
; COMPUTE_PGM_RSRC2:TGID_Y_EN: 0
; COMPUTE_PGM_RSRC2:TGID_Z_EN: 0
; COMPUTE_PGM_RSRC2:TIDIG_COMP_CNT: 2
	.section	.text._ZN4vllm3moe17topkGatingSoftmaxILi4ELi64ELi4ELi16ELi64ElEEvPKfPKbPfiPT4_Piiii,"axG",@progbits,_ZN4vllm3moe17topkGatingSoftmaxILi4ELi64ELi4ELi16ELi64ElEEvPKfPKbPfiPT4_Piiii,comdat
	.protected	_ZN4vllm3moe17topkGatingSoftmaxILi4ELi64ELi4ELi16ELi64ElEEvPKfPKbPfiPT4_Piiii ; -- Begin function _ZN4vllm3moe17topkGatingSoftmaxILi4ELi64ELi4ELi16ELi64ElEEvPKfPKbPfiPT4_Piiii
	.globl	_ZN4vllm3moe17topkGatingSoftmaxILi4ELi64ELi4ELi16ELi64ElEEvPKfPKbPfiPT4_Piiii
	.p2align	8
	.type	_ZN4vllm3moe17topkGatingSoftmaxILi4ELi64ELi4ELi16ELi64ElEEvPKfPKbPfiPT4_Piiii,@function
_ZN4vllm3moe17topkGatingSoftmaxILi4ELi64ELi4ELi16ELi64ElEEvPKfPKbPfiPT4_Piiii: ; @_ZN4vllm3moe17topkGatingSoftmaxILi4ELi64ELi4ELi16ELi64ElEEvPKfPKbPfiPT4_Piiii
; %bb.0:
	s_load_b32 s14, s[2:3], 0x18
	v_bfe_u32 v7, v0, 10, 10
	v_and_b32_e32 v8, 0x3ff, v0
	s_lshl_b32 s4, s15, 4
	s_delay_alu instid0(VALU_DEP_2) | instskip(NEXT) | instid1(VALU_DEP_2)
	v_lshlrev_b32_e32 v1, 2, v7
	v_lshrrev_b32_e32 v2, 4, v8
	s_delay_alu instid0(VALU_DEP_1) | instskip(SKIP_2) | instid1(VALU_DEP_1)
	v_add3_u32 v1, s4, v1, v2
	s_mov_b32 s4, exec_lo
	s_waitcnt lgkmcnt(0)
	v_cmpx_gt_i32_e64 s14, v1
	s_cbranch_execz .LBB57_26
; %bb.1:
	s_clause 0x1
	s_load_b128 s[4:7], s[2:3], 0x0
	s_load_b64 s[12:13], s[2:3], 0x10
	s_mov_b32 s15, -1
	s_waitcnt lgkmcnt(0)
	s_cmp_eq_u64 s[6:7], 0
	s_cbranch_scc1 .LBB57_3
; %bb.2:
	v_ashrrev_i32_e32 v3, 31, v1
	v_add_co_u32 v2, vcc_lo, s6, v1
	s_delay_alu instid0(VALU_DEP_2) | instskip(SKIP_3) | instid1(VALU_DEP_1)
	v_add_co_ci_u32_e32 v3, vcc_lo, s7, v3, vcc_lo
	global_load_u8 v2, v[2:3], off
	s_waitcnt vmcnt(0)
	v_and_b32_e32 v2, 1, v2
	v_cmp_eq_u32_e32 vcc_lo, 1, v2
	s_xor_b32 s6, vcc_lo, -1
	s_delay_alu instid0(SALU_CYCLE_1)
	s_or_not1_b32 s15, s6, exec_lo
.LBB57_3:
	v_mbcnt_lo_u32_b32 v6, -1, 0
	v_lshlrev_b32_e32 v3, 6, v1
	v_and_b32_e32 v2, 15, v8
	s_load_b64 s[0:1], s[0:1], 0x4
	v_bfe_u32 v0, v0, 20, 10
	v_xor_b32_e32 v14, 4, v6
	v_ashrrev_i32_e32 v4, 31, v3
	v_lshlrev_b32_e32 v5, 4, v2
	s_delay_alu instid0(VALU_DEP_2) | instskip(NEXT) | instid1(VALU_DEP_1)
	v_lshlrev_b64 v[3:4], 2, v[3:4]
	v_add_co_u32 v3, vcc_lo, s4, v3
	s_delay_alu instid0(VALU_DEP_2) | instskip(SKIP_1) | instid1(VALU_DEP_2)
	v_add_co_ci_u32_e32 v4, vcc_lo, s5, v4, vcc_lo
	s_load_b128 s[4:7], s[2:3], 0x30
	v_add_co_u32 v3, vcc_lo, v3, v5
	s_delay_alu instid0(VALU_DEP_2)
	v_add_co_ci_u32_e32 v4, vcc_lo, 0, v4, vcc_lo
	s_waitcnt lgkmcnt(0)
	s_lshr_b32 s0, s0, 16
	s_mov_b32 s7, 0
	s_mul_i32 s0, s0, s1
	global_load_b128 v[9:12], v[3:4], off
	v_and_b32_e32 v3, 16, v6
	v_xor_b32_e32 v4, 8, v6
	v_mul_lo_u32 v8, s0, v8
	s_delay_alu instid0(VALU_DEP_3) | instskip(NEXT) | instid1(VALU_DEP_2)
	v_add_nc_u32_e32 v13, 16, v3
	v_mad_u32_u24 v7, v7, s1, v8
	s_delay_alu instid0(VALU_DEP_2) | instskip(SKIP_1) | instid1(VALU_DEP_2)
	v_cmp_lt_i32_e32 vcc_lo, v4, v13
	s_cmp_lt_i32 s4, 1
	v_add_lshl_u32 v0, v7, v0, 4
	v_cndmask_b32_e32 v4, v6, v4, vcc_lo
	v_cmp_lt_i32_e32 vcc_lo, v14, v13
	v_cndmask_b32_e32 v14, v6, v14, vcc_lo
	s_waitcnt vmcnt(0)
	v_max_f32_e32 v3, v10, v10
	v_max_f32_e32 v5, v9, v9
	s_delay_alu instid0(VALU_DEP_1) | instskip(SKIP_1) | instid1(VALU_DEP_2)
	v_max_f32_e32 v5, v5, v3
	v_lshlrev_b32_e32 v3, 2, v4
	v_max3_f32 v5, v5, v11, v12
	ds_bpermute_b32 v4, v3, v5
	s_waitcnt lgkmcnt(0)
	v_dual_max_f32 v15, v4, v4 :: v_dual_lshlrev_b32 v4, 2, v14
	s_delay_alu instid0(VALU_DEP_1)
	v_max_f32_e32 v14, v5, v15
	v_xor_b32_e32 v15, 2, v6
	ds_bpermute_b32 v5, v4, v14
	v_cmp_lt_i32_e32 vcc_lo, v15, v13
	s_waitcnt lgkmcnt(0)
	v_dual_cndmask_b32 v15, v6, v15 :: v_dual_max_f32 v16, v5, v5
	s_delay_alu instid0(VALU_DEP_1)
	v_dual_max_f32 v14, v14, v16 :: v_dual_lshlrev_b32 v5, 2, v15
	v_xor_b32_e32 v16, 1, v6
	ds_bpermute_b32 v15, v5, v14
	v_cmp_lt_i32_e32 vcc_lo, v16, v13
	v_cndmask_b32_e32 v6, v6, v16, vcc_lo
	s_waitcnt lgkmcnt(0)
	s_delay_alu instid0(VALU_DEP_1) | instskip(NEXT) | instid1(VALU_DEP_1)
	v_dual_max_f32 v13, v15, v15 :: v_dual_lshlrev_b32 v6, 2, v6
	v_max_f32_e32 v13, v14, v13
	ds_bpermute_b32 v14, v6, v13
	s_waitcnt lgkmcnt(0)
	v_max_f32_e32 v14, v14, v14
	s_delay_alu instid0(VALU_DEP_1) | instskip(NEXT) | instid1(VALU_DEP_1)
	v_max_f32_e32 v13, v13, v14
	v_sub_f32_e32 v10, v10, v13
	s_delay_alu instid0(VALU_DEP_1) | instskip(NEXT) | instid1(VALU_DEP_1)
	v_mul_f32_e32 v14, 0x3fb8aa3b, v10
	v_rndne_f32_e32 v20, v14
	v_fma_f32 v19, 0x3fb8aa3b, v10, -v14
	s_delay_alu instid0(VALU_DEP_2) | instskip(SKIP_1) | instid1(VALU_DEP_1)
	v_sub_f32_e32 v14, v14, v20
	v_sub_f32_e32 v12, v12, v13
	v_dual_sub_f32 v11, v11, v13 :: v_dual_mul_f32 v16, 0x3fb8aa3b, v12
	s_delay_alu instid0(VALU_DEP_1) | instskip(SKIP_1) | instid1(VALU_DEP_3)
	v_mul_f32_e32 v15, 0x3fb8aa3b, v11
	v_fmac_f32_e32 v19, 0x32a5705f, v10
	v_fma_f32 v23, 0x3fb8aa3b, v12, -v16
	v_rndne_f32_e32 v24, v16
	v_sub_f32_e32 v9, v9, v13
	v_rndne_f32_e32 v22, v15
	s_delay_alu instid0(VALU_DEP_4) | instskip(NEXT) | instid1(VALU_DEP_3)
	v_dual_add_f32 v14, v14, v19 :: v_dual_fmac_f32 v23, 0x32a5705f, v12
	v_dual_sub_f32 v16, v16, v24 :: v_dual_mul_f32 v13, 0x3fb8aa3b, v9
	v_fma_f32 v21, 0x3fb8aa3b, v11, -v15
	s_delay_alu instid0(VALU_DEP_4) | instskip(NEXT) | instid1(VALU_DEP_4)
	v_sub_f32_e32 v15, v15, v22
	v_exp_f32_e32 v14, v14
	s_delay_alu instid0(VALU_DEP_3)
	v_add_f32_e32 v16, v16, v23
	v_fma_f32 v17, 0x3fb8aa3b, v9, -v13
	v_rndne_f32_e32 v18, v13
	v_fmac_f32_e32 v21, 0x32a5705f, v11
	v_cmp_ngt_f32_e32 vcc_lo, 0xc2ce8ed0, v9
	v_cvt_i32_f32_e32 v19, v22
	v_fmac_f32_e32 v17, 0x32a5705f, v9
	v_sub_f32_e32 v13, v13, v18
	v_add_f32_e32 v15, v15, v21
	v_exp_f32_e32 v16, v16
	s_delay_alu instid0(VALU_DEP_2) | instskip(SKIP_1) | instid1(VALU_DEP_3)
	v_add_f32_e32 v13, v13, v17
	v_cvt_i32_f32_e32 v17, v18
	v_exp_f32_e32 v15, v15
	v_cvt_i32_f32_e32 v18, v20
	v_cvt_i32_f32_e32 v20, v24
	v_exp_f32_e32 v13, v13
	s_delay_alu instid0(VALU_DEP_2)
	v_ldexp_f32 v14, v14, v18
	s_delay_alu instid0(TRANS32_DEP_3) | instid1(VALU_DEP_2)
	v_ldexp_f32 v16, v16, v20
	s_waitcnt_depctr 0xfff
	v_ldexp_f32 v15, v15, v19
	v_ldexp_f32 v13, v13, v17
	s_delay_alu instid0(VALU_DEP_1)
	v_cndmask_b32_e32 v13, 0, v13, vcc_lo
	v_cmp_ngt_f32_e32 vcc_lo, 0xc2ce8ed0, v10
	v_cndmask_b32_e32 v14, 0, v14, vcc_lo
	v_cmp_ngt_f32_e32 vcc_lo, 0xc2ce8ed0, v11
	v_cndmask_b32_e32 v15, 0, v15, vcc_lo
	v_cmp_nlt_f32_e32 vcc_lo, 0x42b17218, v9
	v_cndmask_b32_e32 v9, 0x7f800000, v13, vcc_lo
	v_cmp_nlt_f32_e32 vcc_lo, 0x42b17218, v10
	v_cndmask_b32_e32 v10, 0x7f800000, v14, vcc_lo
	v_cmp_ngt_f32_e32 vcc_lo, 0xc2ce8ed0, v12
	s_delay_alu instid0(VALU_DEP_2) | instskip(SKIP_3) | instid1(VALU_DEP_2)
	v_dual_add_f32 v14, v9, v10 :: v_dual_cndmask_b32 v13, 0, v16
	v_cmp_nlt_f32_e32 vcc_lo, 0x42b17218, v11
	v_cndmask_b32_e32 v11, 0x7f800000, v15, vcc_lo
	v_cmp_nlt_f32_e32 vcc_lo, 0x42b17218, v12
	v_dual_cndmask_b32 v12, 0x7f800000, v13 :: v_dual_add_f32 v13, v14, v11
	s_delay_alu instid0(VALU_DEP_1)
	v_add_f32_e32 v13, v13, v12
	ds_bpermute_b32 v14, v3, v13
	s_waitcnt lgkmcnt(0)
	v_add_f32_e32 v13, v13, v14
	ds_bpermute_b32 v14, v4, v13
	s_waitcnt lgkmcnt(0)
	;; [unrolled: 3-line block ×4, first 2 shown]
	v_add_f32_e32 v13, v13, v14
	s_delay_alu instid0(VALU_DEP_1) | instskip(SKIP_1) | instid1(VALU_DEP_2)
	v_div_scale_f32 v14, null, v13, v13, 1.0
	v_div_scale_f32 v17, vcc_lo, 1.0, v13, 1.0
	v_rcp_f32_e32 v15, v14
	s_waitcnt_depctr 0xfff
	v_fma_f32 v16, -v14, v15, 1.0
	s_delay_alu instid0(VALU_DEP_1) | instskip(NEXT) | instid1(VALU_DEP_1)
	v_fmac_f32_e32 v15, v16, v15
	v_mul_f32_e32 v16, v17, v15
	s_delay_alu instid0(VALU_DEP_1) | instskip(NEXT) | instid1(VALU_DEP_1)
	v_fma_f32 v18, -v14, v16, v17
	v_fmac_f32_e32 v16, v18, v15
	s_delay_alu instid0(VALU_DEP_1) | instskip(NEXT) | instid1(VALU_DEP_1)
	v_fma_f32 v14, -v14, v16, v17
	v_div_fmas_f32 v14, v14, v15, v16
	s_delay_alu instid0(VALU_DEP_1) | instskip(NEXT) | instid1(VALU_DEP_1)
	v_div_fixup_f32 v13, v14, v13, 1.0
	v_mul_f32_e32 v7, v13, v9
	v_mul_f32_e32 v8, v13, v10
	;; [unrolled: 1-line block ×4, first 2 shown]
	ds_store_b128 v0, v[7:10]
	s_cbranch_scc1 .LBB57_26
; %bb.4:
	s_load_b128 s[8:11], s[2:3], 0x20
	v_mul_lo_u32 v7, v1, s4
	v_dual_mov_b32 v9, 0xc61c4000 :: v_dual_lshlrev_b32 v8, 2, v2
	v_cmp_eq_u32_e32 vcc_lo, 0, v2
	s_branch .LBB57_6
.LBB57_5:                               ;   in Loop: Header=BB57_6 Depth=1
	s_or_b32 exec_lo, exec_lo, s0
	v_add_nc_u32_e32 v1, s14, v1
	s_cmp_lg_u32 s4, s7
	s_cbranch_scc0 .LBB57_26
.LBB57_6:                               ; =>This Inner Loop Header: Depth=1
	ds_load_b128 v[10:13], v0
	s_mov_b32 s3, exec_lo
	s_waitcnt lgkmcnt(0)
	v_cmp_gt_f32_e64 s0, v11, v10
	s_delay_alu instid0(VALU_DEP_1) | instskip(SKIP_1) | instid1(VALU_DEP_2)
	v_cndmask_b32_e64 v10, v10, v11, s0
	v_cndmask_b32_e64 v11, 0, 1, s0
	v_cmp_gt_f32_e64 s0, v12, v10
	s_delay_alu instid0(VALU_DEP_1) | instskip(NEXT) | instid1(VALU_DEP_3)
	v_cndmask_b32_e64 v10, v10, v12, s0
	v_cndmask_b32_e64 v12, v11, 2, s0
	s_delay_alu instid0(VALU_DEP_2) | instskip(NEXT) | instid1(VALU_DEP_1)
	v_cmp_gt_f32_e64 s0, v13, v10
	v_cndmask_b32_e64 v11, v10, v13, s0
	s_delay_alu instid0(VALU_DEP_3)
	v_cndmask_b32_e64 v10, v12, 3, s0
	ds_bpermute_b32 v12, v3, v11
	v_or_b32_e32 v10, v8, v10
	ds_bpermute_b32 v13, v3, v10
	s_waitcnt lgkmcnt(1)
	v_cmp_lt_f32_e64 s2, v11, v12
	v_cmpx_nlt_f32_e32 v11, v12
	s_cbranch_execz .LBB57_8
; %bb.7:                                ;   in Loop: Header=BB57_6 Depth=1
	v_cmp_eq_f32_e64 s0, v11, v12
	s_waitcnt lgkmcnt(0)
	v_cmp_lt_i32_e64 s1, v13, v10
	s_delay_alu instid0(VALU_DEP_1) | instskip(SKIP_2) | instid1(SALU_CYCLE_1)
	s_and_b32 s0, s0, s1
	s_and_not1_b32 s1, s2, exec_lo
	s_and_b32 s0, s0, exec_lo
	s_or_b32 s2, s1, s0
.LBB57_8:                               ;   in Loop: Header=BB57_6 Depth=1
	s_or_b32 exec_lo, exec_lo, s3
	s_delay_alu instid0(VALU_DEP_2)
	s_and_saveexec_b32 s0, s2
	s_cbranch_execz .LBB57_10
; %bb.9:                                ;   in Loop: Header=BB57_6 Depth=1
	s_waitcnt lgkmcnt(0)
	v_dual_mov_b32 v11, v12 :: v_dual_mov_b32 v10, v13
.LBB57_10:                              ;   in Loop: Header=BB57_6 Depth=1
	s_or_b32 exec_lo, exec_lo, s0
	s_waitcnt lgkmcnt(0)
	ds_bpermute_b32 v13, v4, v11
	ds_bpermute_b32 v12, v4, v10
	s_mov_b32 s3, exec_lo
	s_waitcnt lgkmcnt(1)
	v_cmp_lt_f32_e64 s2, v11, v13
	v_cmpx_nlt_f32_e32 v11, v13
	s_cbranch_execz .LBB57_12
; %bb.11:                               ;   in Loop: Header=BB57_6 Depth=1
	v_cmp_eq_f32_e64 s0, v11, v13
	s_waitcnt lgkmcnt(0)
	v_cmp_lt_i32_e64 s1, v12, v10
	s_delay_alu instid0(VALU_DEP_1) | instskip(SKIP_2) | instid1(SALU_CYCLE_1)
	s_and_b32 s0, s0, s1
	s_and_not1_b32 s1, s2, exec_lo
	s_and_b32 s0, s0, exec_lo
	s_or_b32 s2, s1, s0
.LBB57_12:                              ;   in Loop: Header=BB57_6 Depth=1
	s_or_b32 exec_lo, exec_lo, s3
	s_delay_alu instid0(VALU_DEP_2)
	s_and_saveexec_b32 s0, s2
	s_cbranch_execz .LBB57_14
; %bb.13:                               ;   in Loop: Header=BB57_6 Depth=1
	s_waitcnt lgkmcnt(0)
	v_dual_mov_b32 v11, v13 :: v_dual_mov_b32 v10, v12
.LBB57_14:                              ;   in Loop: Header=BB57_6 Depth=1
	s_or_b32 exec_lo, exec_lo, s0
	ds_bpermute_b32 v13, v5, v11
	s_waitcnt lgkmcnt(1)
	ds_bpermute_b32 v12, v5, v10
	s_mov_b32 s3, exec_lo
	s_waitcnt lgkmcnt(1)
	v_cmp_lt_f32_e64 s2, v11, v13
	v_cmpx_nlt_f32_e32 v11, v13
	s_cbranch_execz .LBB57_16
; %bb.15:                               ;   in Loop: Header=BB57_6 Depth=1
	v_cmp_eq_f32_e64 s0, v11, v13
	s_waitcnt lgkmcnt(0)
	v_cmp_lt_i32_e64 s1, v12, v10
	s_delay_alu instid0(VALU_DEP_1) | instskip(SKIP_2) | instid1(SALU_CYCLE_1)
	s_and_b32 s0, s0, s1
	s_and_not1_b32 s1, s2, exec_lo
	s_and_b32 s0, s0, exec_lo
	s_or_b32 s2, s1, s0
.LBB57_16:                              ;   in Loop: Header=BB57_6 Depth=1
	s_or_b32 exec_lo, exec_lo, s3
	s_delay_alu instid0(VALU_DEP_2)
	s_and_saveexec_b32 s0, s2
	s_cbranch_execz .LBB57_18
; %bb.17:                               ;   in Loop: Header=BB57_6 Depth=1
	s_waitcnt lgkmcnt(0)
	v_dual_mov_b32 v11, v13 :: v_dual_mov_b32 v10, v12
.LBB57_18:                              ;   in Loop: Header=BB57_6 Depth=1
	s_or_b32 exec_lo, exec_lo, s0
	s_waitcnt lgkmcnt(0)
	ds_bpermute_b32 v12, v6, v11
	ds_bpermute_b32 v13, v6, v10
	s_mov_b32 s3, exec_lo
	s_waitcnt lgkmcnt(1)
	v_cmp_lt_f32_e64 s2, v11, v12
	v_cmpx_nlt_f32_e32 v11, v12
	s_cbranch_execnz .LBB57_24
; %bb.19:                               ;   in Loop: Header=BB57_6 Depth=1
	s_or_b32 exec_lo, exec_lo, s3
	s_delay_alu instid0(VALU_DEP_2)
	s_and_saveexec_b32 s0, s2
	s_cbranch_execnz .LBB57_25
.LBB57_20:                              ;   in Loop: Header=BB57_6 Depth=1
	s_or_b32 exec_lo, exec_lo, s0
	s_and_saveexec_b32 s2, vcc_lo
	s_cbranch_execz .LBB57_22
.LBB57_21:                              ;   in Loop: Header=BB57_6 Depth=1
	v_add_nc_u32_e32 v12, s7, v7
	v_subrev_nc_u32_e32 v16, s5, v10
	v_cmp_le_i32_e64 s0, s5, v10
	v_cmp_gt_i32_e64 s1, s6, v10
	s_waitcnt lgkmcnt(0)
	v_ashrrev_i32_e32 v13, 31, v12
	v_ashrrev_i32_e32 v17, 31, v16
	s_delay_alu instid0(VALU_DEP_3) | instskip(NEXT) | instid1(SALU_CYCLE_1)
	s_and_b32 s0, s0, s1
	s_and_b32 s0, s15, s0
	s_delay_alu instid0(VALU_DEP_2) | instskip(SKIP_3) | instid1(VALU_DEP_4)
	v_lshlrev_b64 v[14:15], 2, v[12:13]
	v_lshlrev_b64 v[12:13], 3, v[12:13]
	v_cndmask_b32_e64 v17, 0, v17, s0
	v_cndmask_b32_e64 v16, 64, v16, s0
	v_add_co_u32 v18, s0, s12, v14
	s_delay_alu instid0(VALU_DEP_1) | instskip(SKIP_1) | instid1(VALU_DEP_1)
	v_add_co_ci_u32_e64 v19, s0, s13, v15, s0
	v_add_co_u32 v12, s0, s8, v12
	v_add_co_ci_u32_e64 v13, s0, s9, v13, s0
	v_add_co_u32 v14, s0, s10, v14
	s_delay_alu instid0(VALU_DEP_1)
	v_add_co_ci_u32_e64 v15, s0, s11, v15, s0
	global_store_b32 v[18:19], v11, off
	global_store_b64 v[12:13], v[16:17], off
	global_store_b32 v[14:15], v1, off
.LBB57_22:                              ;   in Loop: Header=BB57_6 Depth=1
	s_or_b32 exec_lo, exec_lo, s2
	v_ashrrev_i32_e32 v11, 31, v10
	s_add_i32 s7, s7, 1
	s_delay_alu instid0(SALU_CYCLE_1) | instskip(SKIP_1) | instid1(VALU_DEP_1)
	s_cmp_lt_i32 s7, s4
	s_cselect_b32 s1, -1, 0
	v_lshrrev_b32_e32 v12, 30, v11
	s_delay_alu instid0(VALU_DEP_1) | instskip(SKIP_1) | instid1(VALU_DEP_1)
	v_add_nc_u32_e32 v12, v10, v12
	s_waitcnt lgkmcnt(0)
	v_ashrrev_i32_e32 v13, 31, v12
	v_ashrrev_i32_e32 v12, 2, v12
	s_delay_alu instid0(VALU_DEP_2) | instskip(NEXT) | instid1(VALU_DEP_1)
	v_lshrrev_b32_e32 v13, 28, v13
	v_add_nc_u32_e32 v13, v12, v13
	s_delay_alu instid0(VALU_DEP_1) | instskip(NEXT) | instid1(VALU_DEP_1)
	v_and_b32_e32 v13, -16, v13
	v_sub_nc_u32_e32 v13, v12, v13
	s_delay_alu instid0(VALU_DEP_1) | instskip(NEXT) | instid1(VALU_DEP_1)
	v_cmp_eq_u32_e64 s0, v2, v13
	s_and_b32 s1, s1, s0
	s_delay_alu instid0(SALU_CYCLE_1)
	s_and_saveexec_b32 s0, s1
	s_cbranch_execz .LBB57_5
; %bb.23:                               ;   in Loop: Header=BB57_6 Depth=1
	v_lshrrev_b32_e32 v11, 26, v11
	v_lshlrev_b32_e32 v12, 2, v12
	s_delay_alu instid0(VALU_DEP_2) | instskip(NEXT) | instid1(VALU_DEP_2)
	v_add_nc_u32_e32 v11, v10, v11
	v_sub_nc_u32_e32 v10, v10, v12
	s_delay_alu instid0(VALU_DEP_2) | instskip(NEXT) | instid1(VALU_DEP_1)
	v_ashrrev_i32_e32 v11, 6, v11
	v_lshl_add_u32 v10, v11, 2, v10
	s_delay_alu instid0(VALU_DEP_1)
	v_lshl_add_u32 v10, v10, 2, v0
	ds_store_b32 v10, v9
	s_branch .LBB57_5
.LBB57_24:                              ;   in Loop: Header=BB57_6 Depth=1
	v_cmp_eq_f32_e64 s0, v11, v12
	s_waitcnt lgkmcnt(0)
	v_cmp_lt_i32_e64 s1, v13, v10
	s_delay_alu instid0(VALU_DEP_1) | instskip(SKIP_2) | instid1(SALU_CYCLE_1)
	s_and_b32 s0, s0, s1
	s_and_not1_b32 s1, s2, exec_lo
	s_and_b32 s0, s0, exec_lo
	s_or_b32 s2, s1, s0
	s_or_b32 exec_lo, exec_lo, s3
	s_and_saveexec_b32 s0, s2
	s_cbranch_execz .LBB57_20
.LBB57_25:                              ;   in Loop: Header=BB57_6 Depth=1
	s_waitcnt lgkmcnt(0)
	v_dual_mov_b32 v11, v12 :: v_dual_mov_b32 v10, v13
	s_or_b32 exec_lo, exec_lo, s0
	s_and_saveexec_b32 s2, vcc_lo
	s_cbranch_execnz .LBB57_21
	s_branch .LBB57_22
.LBB57_26:
	s_nop 0
	s_sendmsg sendmsg(MSG_DEALLOC_VGPRS)
	s_endpgm
	.section	.rodata,"a",@progbits
	.p2align	6, 0x0
	.amdhsa_kernel _ZN4vllm3moe17topkGatingSoftmaxILi4ELi64ELi4ELi16ELi64ElEEvPKfPKbPfiPT4_Piiii
		.amdhsa_group_segment_fixed_size 4096
		.amdhsa_private_segment_fixed_size 0
		.amdhsa_kernarg_size 60
		.amdhsa_user_sgpr_count 15
		.amdhsa_user_sgpr_dispatch_ptr 1
		.amdhsa_user_sgpr_queue_ptr 0
		.amdhsa_user_sgpr_kernarg_segment_ptr 1
		.amdhsa_user_sgpr_dispatch_id 0
		.amdhsa_user_sgpr_private_segment_size 0
		.amdhsa_wavefront_size32 1
		.amdhsa_uses_dynamic_stack 0
		.amdhsa_enable_private_segment 0
		.amdhsa_system_sgpr_workgroup_id_x 1
		.amdhsa_system_sgpr_workgroup_id_y 0
		.amdhsa_system_sgpr_workgroup_id_z 0
		.amdhsa_system_sgpr_workgroup_info 0
		.amdhsa_system_vgpr_workitem_id 2
		.amdhsa_next_free_vgpr 25
		.amdhsa_next_free_sgpr 16
		.amdhsa_reserve_vcc 1
		.amdhsa_float_round_mode_32 0
		.amdhsa_float_round_mode_16_64 0
		.amdhsa_float_denorm_mode_32 3
		.amdhsa_float_denorm_mode_16_64 3
		.amdhsa_dx10_clamp 1
		.amdhsa_ieee_mode 1
		.amdhsa_fp16_overflow 0
		.amdhsa_workgroup_processor_mode 1
		.amdhsa_memory_ordered 1
		.amdhsa_forward_progress 0
		.amdhsa_shared_vgpr_count 0
		.amdhsa_exception_fp_ieee_invalid_op 0
		.amdhsa_exception_fp_denorm_src 0
		.amdhsa_exception_fp_ieee_div_zero 0
		.amdhsa_exception_fp_ieee_overflow 0
		.amdhsa_exception_fp_ieee_underflow 0
		.amdhsa_exception_fp_ieee_inexact 0
		.amdhsa_exception_int_div_zero 0
	.end_amdhsa_kernel
	.section	.text._ZN4vllm3moe17topkGatingSoftmaxILi4ELi64ELi4ELi16ELi64ElEEvPKfPKbPfiPT4_Piiii,"axG",@progbits,_ZN4vllm3moe17topkGatingSoftmaxILi4ELi64ELi4ELi16ELi64ElEEvPKfPKbPfiPT4_Piiii,comdat
.Lfunc_end57:
	.size	_ZN4vllm3moe17topkGatingSoftmaxILi4ELi64ELi4ELi16ELi64ElEEvPKfPKbPfiPT4_Piiii, .Lfunc_end57-_ZN4vllm3moe17topkGatingSoftmaxILi4ELi64ELi4ELi16ELi64ElEEvPKfPKbPfiPT4_Piiii
                                        ; -- End function
	.section	.AMDGPU.csdata,"",@progbits
; Kernel info:
; codeLenInByte = 2100
; NumSgprs: 18
; NumVgprs: 25
; ScratchSize: 0
; MemoryBound: 0
; FloatMode: 240
; IeeeMode: 1
; LDSByteSize: 4096 bytes/workgroup (compile time only)
; SGPRBlocks: 2
; VGPRBlocks: 3
; NumSGPRsForWavesPerEU: 18
; NumVGPRsForWavesPerEU: 25
; Occupancy: 16
; WaveLimiterHint : 0
; COMPUTE_PGM_RSRC2:SCRATCH_EN: 0
; COMPUTE_PGM_RSRC2:USER_SGPR: 15
; COMPUTE_PGM_RSRC2:TRAP_HANDLER: 0
; COMPUTE_PGM_RSRC2:TGID_X_EN: 1
; COMPUTE_PGM_RSRC2:TGID_Y_EN: 0
; COMPUTE_PGM_RSRC2:TGID_Z_EN: 0
; COMPUTE_PGM_RSRC2:TIDIG_COMP_CNT: 2
	.section	.text._ZN4vllm3moe17topkGatingSoftmaxILi4ELi64ELi4ELi16ELi32ElEEvPKfPKbPfiPT4_Piiii,"axG",@progbits,_ZN4vllm3moe17topkGatingSoftmaxILi4ELi64ELi4ELi16ELi32ElEEvPKfPKbPfiPT4_Piiii,comdat
	.protected	_ZN4vllm3moe17topkGatingSoftmaxILi4ELi64ELi4ELi16ELi32ElEEvPKfPKbPfiPT4_Piiii ; -- Begin function _ZN4vllm3moe17topkGatingSoftmaxILi4ELi64ELi4ELi16ELi32ElEEvPKfPKbPfiPT4_Piiii
	.globl	_ZN4vllm3moe17topkGatingSoftmaxILi4ELi64ELi4ELi16ELi32ElEEvPKfPKbPfiPT4_Piiii
	.p2align	8
	.type	_ZN4vllm3moe17topkGatingSoftmaxILi4ELi64ELi4ELi16ELi32ElEEvPKfPKbPfiPT4_Piiii,@function
_ZN4vllm3moe17topkGatingSoftmaxILi4ELi64ELi4ELi16ELi32ElEEvPKfPKbPfiPT4_Piiii: ; @_ZN4vllm3moe17topkGatingSoftmaxILi4ELi64ELi4ELi16ELi32ElEEvPKfPKbPfiPT4_Piiii
; %bb.0:
	s_load_b32 s14, s[2:3], 0x18
	v_bfe_u32 v8, v0, 10, 10
	v_and_b32_e32 v7, 0x3ff, v0
	s_lshl_b32 s4, s15, 3
	s_delay_alu instid0(VALU_DEP_2) | instskip(NEXT) | instid1(VALU_DEP_2)
	v_lshlrev_b32_e32 v1, 1, v8
	v_lshrrev_b32_e32 v2, 4, v7
	s_delay_alu instid0(VALU_DEP_1) | instskip(SKIP_2) | instid1(VALU_DEP_1)
	v_add3_u32 v1, s4, v1, v2
	s_mov_b32 s4, exec_lo
	s_waitcnt lgkmcnt(0)
	v_cmpx_gt_i32_e64 s14, v1
	s_cbranch_execz .LBB58_26
; %bb.1:
	s_clause 0x1
	s_load_b128 s[4:7], s[2:3], 0x0
	s_load_b64 s[12:13], s[2:3], 0x10
	s_mov_b32 s15, -1
	s_waitcnt lgkmcnt(0)
	s_cmp_eq_u64 s[6:7], 0
	s_cbranch_scc1 .LBB58_3
; %bb.2:
	v_ashrrev_i32_e32 v3, 31, v1
	v_add_co_u32 v2, vcc_lo, s6, v1
	s_delay_alu instid0(VALU_DEP_2) | instskip(SKIP_3) | instid1(VALU_DEP_1)
	v_add_co_ci_u32_e32 v3, vcc_lo, s7, v3, vcc_lo
	global_load_u8 v2, v[2:3], off
	s_waitcnt vmcnt(0)
	v_and_b32_e32 v2, 1, v2
	v_cmp_eq_u32_e32 vcc_lo, 1, v2
	s_xor_b32 s6, vcc_lo, -1
	s_delay_alu instid0(SALU_CYCLE_1)
	s_or_not1_b32 s15, s6, exec_lo
.LBB58_3:
	v_mbcnt_lo_u32_b32 v6, -1, 0
	v_lshlrev_b32_e32 v3, 6, v1
	v_and_b32_e32 v2, 15, v7
	s_load_b64 s[0:1], s[0:1], 0x4
	v_bfe_u32 v0, v0, 20, 10
	v_xor_b32_e32 v14, 4, v6
	v_ashrrev_i32_e32 v4, 31, v3
	v_lshlrev_b32_e32 v5, 4, v2
	s_delay_alu instid0(VALU_DEP_2) | instskip(NEXT) | instid1(VALU_DEP_1)
	v_lshlrev_b64 v[3:4], 2, v[3:4]
	v_add_co_u32 v3, vcc_lo, s4, v3
	s_delay_alu instid0(VALU_DEP_2) | instskip(SKIP_1) | instid1(VALU_DEP_2)
	v_add_co_ci_u32_e32 v4, vcc_lo, s5, v4, vcc_lo
	s_load_b128 s[4:7], s[2:3], 0x30
	v_add_co_u32 v3, vcc_lo, v3, v5
	s_delay_alu instid0(VALU_DEP_2)
	v_add_co_ci_u32_e32 v4, vcc_lo, 0, v4, vcc_lo
	s_waitcnt lgkmcnt(0)
	v_mul_u32_u24_e32 v8, s1, v8
	s_lshr_b32 s0, s0, 16
	s_mov_b32 s7, 0
	global_load_b128 v[9:12], v[3:4], off
	v_and_b32_e32 v3, 16, v6
	v_xor_b32_e32 v4, 8, v6
	s_mul_i32 s0, s0, s1
	s_delay_alu instid0(SALU_CYCLE_1) | instskip(NEXT) | instid1(VALU_DEP_3)
	v_mad_u32_u24 v7, s0, v7, v8
	v_add_nc_u32_e32 v13, 16, v3
	s_delay_alu instid0(VALU_DEP_2) | instskip(NEXT) | instid1(VALU_DEP_2)
	v_add_lshl_u32 v0, v7, v0, 4
	v_cmp_lt_i32_e32 vcc_lo, v4, v13
	s_cmp_lt_i32 s4, 1
	v_cndmask_b32_e32 v4, v6, v4, vcc_lo
	v_cmp_lt_i32_e32 vcc_lo, v14, v13
	v_cndmask_b32_e32 v14, v6, v14, vcc_lo
	s_waitcnt vmcnt(0)
	v_max_f32_e32 v3, v10, v10
	v_max_f32_e32 v5, v9, v9
	s_delay_alu instid0(VALU_DEP_1) | instskip(SKIP_1) | instid1(VALU_DEP_2)
	v_max_f32_e32 v5, v5, v3
	v_lshlrev_b32_e32 v3, 2, v4
	v_max3_f32 v5, v5, v11, v12
	ds_bpermute_b32 v4, v3, v5
	s_waitcnt lgkmcnt(0)
	v_dual_max_f32 v15, v4, v4 :: v_dual_lshlrev_b32 v4, 2, v14
	s_delay_alu instid0(VALU_DEP_1)
	v_max_f32_e32 v14, v5, v15
	v_xor_b32_e32 v15, 2, v6
	ds_bpermute_b32 v5, v4, v14
	v_cmp_lt_i32_e32 vcc_lo, v15, v13
	s_waitcnt lgkmcnt(0)
	v_dual_cndmask_b32 v15, v6, v15 :: v_dual_max_f32 v16, v5, v5
	s_delay_alu instid0(VALU_DEP_1)
	v_dual_max_f32 v14, v14, v16 :: v_dual_lshlrev_b32 v5, 2, v15
	v_xor_b32_e32 v16, 1, v6
	ds_bpermute_b32 v15, v5, v14
	v_cmp_lt_i32_e32 vcc_lo, v16, v13
	v_cndmask_b32_e32 v6, v6, v16, vcc_lo
	s_waitcnt lgkmcnt(0)
	s_delay_alu instid0(VALU_DEP_1) | instskip(NEXT) | instid1(VALU_DEP_1)
	v_dual_max_f32 v13, v15, v15 :: v_dual_lshlrev_b32 v6, 2, v6
	v_max_f32_e32 v13, v14, v13
	ds_bpermute_b32 v14, v6, v13
	s_waitcnt lgkmcnt(0)
	v_max_f32_e32 v14, v14, v14
	s_delay_alu instid0(VALU_DEP_1) | instskip(NEXT) | instid1(VALU_DEP_1)
	v_max_f32_e32 v13, v13, v14
	v_sub_f32_e32 v10, v10, v13
	s_delay_alu instid0(VALU_DEP_1) | instskip(NEXT) | instid1(VALU_DEP_1)
	v_mul_f32_e32 v14, 0x3fb8aa3b, v10
	v_rndne_f32_e32 v20, v14
	v_fma_f32 v19, 0x3fb8aa3b, v10, -v14
	s_delay_alu instid0(VALU_DEP_2) | instskip(SKIP_1) | instid1(VALU_DEP_1)
	v_sub_f32_e32 v14, v14, v20
	v_sub_f32_e32 v12, v12, v13
	v_dual_sub_f32 v11, v11, v13 :: v_dual_mul_f32 v16, 0x3fb8aa3b, v12
	s_delay_alu instid0(VALU_DEP_1) | instskip(SKIP_1) | instid1(VALU_DEP_3)
	v_mul_f32_e32 v15, 0x3fb8aa3b, v11
	v_fmac_f32_e32 v19, 0x32a5705f, v10
	v_fma_f32 v23, 0x3fb8aa3b, v12, -v16
	v_rndne_f32_e32 v24, v16
	v_sub_f32_e32 v9, v9, v13
	v_rndne_f32_e32 v22, v15
	s_delay_alu instid0(VALU_DEP_4) | instskip(NEXT) | instid1(VALU_DEP_3)
	v_dual_add_f32 v14, v14, v19 :: v_dual_fmac_f32 v23, 0x32a5705f, v12
	v_dual_sub_f32 v16, v16, v24 :: v_dual_mul_f32 v13, 0x3fb8aa3b, v9
	v_fma_f32 v21, 0x3fb8aa3b, v11, -v15
	s_delay_alu instid0(VALU_DEP_4) | instskip(NEXT) | instid1(VALU_DEP_4)
	v_sub_f32_e32 v15, v15, v22
	v_exp_f32_e32 v14, v14
	s_delay_alu instid0(VALU_DEP_3)
	v_add_f32_e32 v16, v16, v23
	v_fma_f32 v17, 0x3fb8aa3b, v9, -v13
	v_rndne_f32_e32 v18, v13
	v_fmac_f32_e32 v21, 0x32a5705f, v11
	v_cmp_ngt_f32_e32 vcc_lo, 0xc2ce8ed0, v9
	v_cvt_i32_f32_e32 v19, v22
	v_fmac_f32_e32 v17, 0x32a5705f, v9
	v_sub_f32_e32 v13, v13, v18
	v_add_f32_e32 v15, v15, v21
	v_exp_f32_e32 v16, v16
	s_delay_alu instid0(VALU_DEP_2) | instskip(SKIP_1) | instid1(VALU_DEP_3)
	v_add_f32_e32 v13, v13, v17
	v_cvt_i32_f32_e32 v17, v18
	v_exp_f32_e32 v15, v15
	v_cvt_i32_f32_e32 v18, v20
	v_cvt_i32_f32_e32 v20, v24
	v_exp_f32_e32 v13, v13
	s_delay_alu instid0(VALU_DEP_2)
	v_ldexp_f32 v14, v14, v18
	s_delay_alu instid0(TRANS32_DEP_3) | instid1(VALU_DEP_2)
	v_ldexp_f32 v16, v16, v20
	s_waitcnt_depctr 0xfff
	v_ldexp_f32 v15, v15, v19
	v_ldexp_f32 v13, v13, v17
	s_delay_alu instid0(VALU_DEP_1)
	v_cndmask_b32_e32 v13, 0, v13, vcc_lo
	v_cmp_ngt_f32_e32 vcc_lo, 0xc2ce8ed0, v10
	v_cndmask_b32_e32 v14, 0, v14, vcc_lo
	v_cmp_ngt_f32_e32 vcc_lo, 0xc2ce8ed0, v11
	v_cndmask_b32_e32 v15, 0, v15, vcc_lo
	v_cmp_nlt_f32_e32 vcc_lo, 0x42b17218, v9
	v_cndmask_b32_e32 v9, 0x7f800000, v13, vcc_lo
	v_cmp_nlt_f32_e32 vcc_lo, 0x42b17218, v10
	v_cndmask_b32_e32 v10, 0x7f800000, v14, vcc_lo
	v_cmp_ngt_f32_e32 vcc_lo, 0xc2ce8ed0, v12
	s_delay_alu instid0(VALU_DEP_2) | instskip(SKIP_3) | instid1(VALU_DEP_2)
	v_dual_add_f32 v14, v9, v10 :: v_dual_cndmask_b32 v13, 0, v16
	v_cmp_nlt_f32_e32 vcc_lo, 0x42b17218, v11
	v_cndmask_b32_e32 v11, 0x7f800000, v15, vcc_lo
	v_cmp_nlt_f32_e32 vcc_lo, 0x42b17218, v12
	v_dual_cndmask_b32 v12, 0x7f800000, v13 :: v_dual_add_f32 v13, v14, v11
	s_delay_alu instid0(VALU_DEP_1)
	v_add_f32_e32 v13, v13, v12
	ds_bpermute_b32 v14, v3, v13
	s_waitcnt lgkmcnt(0)
	v_add_f32_e32 v13, v13, v14
	ds_bpermute_b32 v14, v4, v13
	s_waitcnt lgkmcnt(0)
	;; [unrolled: 3-line block ×4, first 2 shown]
	v_add_f32_e32 v13, v13, v14
	s_delay_alu instid0(VALU_DEP_1) | instskip(SKIP_1) | instid1(VALU_DEP_2)
	v_div_scale_f32 v14, null, v13, v13, 1.0
	v_div_scale_f32 v17, vcc_lo, 1.0, v13, 1.0
	v_rcp_f32_e32 v15, v14
	s_waitcnt_depctr 0xfff
	v_fma_f32 v16, -v14, v15, 1.0
	s_delay_alu instid0(VALU_DEP_1) | instskip(NEXT) | instid1(VALU_DEP_1)
	v_fmac_f32_e32 v15, v16, v15
	v_mul_f32_e32 v16, v17, v15
	s_delay_alu instid0(VALU_DEP_1) | instskip(NEXT) | instid1(VALU_DEP_1)
	v_fma_f32 v18, -v14, v16, v17
	v_fmac_f32_e32 v16, v18, v15
	s_delay_alu instid0(VALU_DEP_1) | instskip(NEXT) | instid1(VALU_DEP_1)
	v_fma_f32 v14, -v14, v16, v17
	v_div_fmas_f32 v14, v14, v15, v16
	s_delay_alu instid0(VALU_DEP_1) | instskip(NEXT) | instid1(VALU_DEP_1)
	v_div_fixup_f32 v13, v14, v13, 1.0
	v_mul_f32_e32 v7, v13, v9
	v_mul_f32_e32 v8, v13, v10
	;; [unrolled: 1-line block ×4, first 2 shown]
	ds_store_b128 v0, v[7:10]
	s_cbranch_scc1 .LBB58_26
; %bb.4:
	s_load_b128 s[8:11], s[2:3], 0x20
	v_mul_lo_u32 v7, v1, s4
	v_dual_mov_b32 v9, 0xc61c4000 :: v_dual_lshlrev_b32 v8, 2, v2
	v_cmp_eq_u32_e32 vcc_lo, 0, v2
	s_branch .LBB58_6
.LBB58_5:                               ;   in Loop: Header=BB58_6 Depth=1
	s_or_b32 exec_lo, exec_lo, s0
	v_add_nc_u32_e32 v1, s14, v1
	s_cmp_lg_u32 s4, s7
	s_cbranch_scc0 .LBB58_26
.LBB58_6:                               ; =>This Inner Loop Header: Depth=1
	ds_load_b128 v[10:13], v0
	s_mov_b32 s3, exec_lo
	s_waitcnt lgkmcnt(0)
	v_cmp_gt_f32_e64 s0, v11, v10
	s_delay_alu instid0(VALU_DEP_1) | instskip(SKIP_1) | instid1(VALU_DEP_2)
	v_cndmask_b32_e64 v10, v10, v11, s0
	v_cndmask_b32_e64 v11, 0, 1, s0
	v_cmp_gt_f32_e64 s0, v12, v10
	s_delay_alu instid0(VALU_DEP_1) | instskip(NEXT) | instid1(VALU_DEP_3)
	v_cndmask_b32_e64 v10, v10, v12, s0
	v_cndmask_b32_e64 v12, v11, 2, s0
	s_delay_alu instid0(VALU_DEP_2) | instskip(NEXT) | instid1(VALU_DEP_1)
	v_cmp_gt_f32_e64 s0, v13, v10
	v_cndmask_b32_e64 v11, v10, v13, s0
	s_delay_alu instid0(VALU_DEP_3)
	v_cndmask_b32_e64 v10, v12, 3, s0
	ds_bpermute_b32 v12, v3, v11
	v_or_b32_e32 v10, v8, v10
	ds_bpermute_b32 v13, v3, v10
	s_waitcnt lgkmcnt(1)
	v_cmp_lt_f32_e64 s2, v11, v12
	v_cmpx_nlt_f32_e32 v11, v12
	s_cbranch_execz .LBB58_8
; %bb.7:                                ;   in Loop: Header=BB58_6 Depth=1
	v_cmp_eq_f32_e64 s0, v11, v12
	s_waitcnt lgkmcnt(0)
	v_cmp_lt_i32_e64 s1, v13, v10
	s_delay_alu instid0(VALU_DEP_1) | instskip(SKIP_2) | instid1(SALU_CYCLE_1)
	s_and_b32 s0, s0, s1
	s_and_not1_b32 s1, s2, exec_lo
	s_and_b32 s0, s0, exec_lo
	s_or_b32 s2, s1, s0
.LBB58_8:                               ;   in Loop: Header=BB58_6 Depth=1
	s_or_b32 exec_lo, exec_lo, s3
	s_delay_alu instid0(VALU_DEP_2)
	s_and_saveexec_b32 s0, s2
	s_cbranch_execz .LBB58_10
; %bb.9:                                ;   in Loop: Header=BB58_6 Depth=1
	s_waitcnt lgkmcnt(0)
	v_dual_mov_b32 v11, v12 :: v_dual_mov_b32 v10, v13
.LBB58_10:                              ;   in Loop: Header=BB58_6 Depth=1
	s_or_b32 exec_lo, exec_lo, s0
	s_waitcnt lgkmcnt(0)
	ds_bpermute_b32 v13, v4, v11
	ds_bpermute_b32 v12, v4, v10
	s_mov_b32 s3, exec_lo
	s_waitcnt lgkmcnt(1)
	v_cmp_lt_f32_e64 s2, v11, v13
	v_cmpx_nlt_f32_e32 v11, v13
	s_cbranch_execz .LBB58_12
; %bb.11:                               ;   in Loop: Header=BB58_6 Depth=1
	v_cmp_eq_f32_e64 s0, v11, v13
	s_waitcnt lgkmcnt(0)
	v_cmp_lt_i32_e64 s1, v12, v10
	s_delay_alu instid0(VALU_DEP_1) | instskip(SKIP_2) | instid1(SALU_CYCLE_1)
	s_and_b32 s0, s0, s1
	s_and_not1_b32 s1, s2, exec_lo
	s_and_b32 s0, s0, exec_lo
	s_or_b32 s2, s1, s0
.LBB58_12:                              ;   in Loop: Header=BB58_6 Depth=1
	s_or_b32 exec_lo, exec_lo, s3
	s_delay_alu instid0(VALU_DEP_2)
	s_and_saveexec_b32 s0, s2
	s_cbranch_execz .LBB58_14
; %bb.13:                               ;   in Loop: Header=BB58_6 Depth=1
	s_waitcnt lgkmcnt(0)
	v_dual_mov_b32 v11, v13 :: v_dual_mov_b32 v10, v12
.LBB58_14:                              ;   in Loop: Header=BB58_6 Depth=1
	s_or_b32 exec_lo, exec_lo, s0
	ds_bpermute_b32 v13, v5, v11
	s_waitcnt lgkmcnt(1)
	ds_bpermute_b32 v12, v5, v10
	s_mov_b32 s3, exec_lo
	s_waitcnt lgkmcnt(1)
	v_cmp_lt_f32_e64 s2, v11, v13
	v_cmpx_nlt_f32_e32 v11, v13
	s_cbranch_execz .LBB58_16
; %bb.15:                               ;   in Loop: Header=BB58_6 Depth=1
	v_cmp_eq_f32_e64 s0, v11, v13
	s_waitcnt lgkmcnt(0)
	v_cmp_lt_i32_e64 s1, v12, v10
	s_delay_alu instid0(VALU_DEP_1) | instskip(SKIP_2) | instid1(SALU_CYCLE_1)
	s_and_b32 s0, s0, s1
	s_and_not1_b32 s1, s2, exec_lo
	s_and_b32 s0, s0, exec_lo
	s_or_b32 s2, s1, s0
.LBB58_16:                              ;   in Loop: Header=BB58_6 Depth=1
	s_or_b32 exec_lo, exec_lo, s3
	s_delay_alu instid0(VALU_DEP_2)
	s_and_saveexec_b32 s0, s2
	s_cbranch_execz .LBB58_18
; %bb.17:                               ;   in Loop: Header=BB58_6 Depth=1
	s_waitcnt lgkmcnt(0)
	v_dual_mov_b32 v11, v13 :: v_dual_mov_b32 v10, v12
.LBB58_18:                              ;   in Loop: Header=BB58_6 Depth=1
	s_or_b32 exec_lo, exec_lo, s0
	s_waitcnt lgkmcnt(0)
	ds_bpermute_b32 v12, v6, v11
	ds_bpermute_b32 v13, v6, v10
	s_mov_b32 s3, exec_lo
	s_waitcnt lgkmcnt(1)
	v_cmp_lt_f32_e64 s2, v11, v12
	v_cmpx_nlt_f32_e32 v11, v12
	s_cbranch_execnz .LBB58_24
; %bb.19:                               ;   in Loop: Header=BB58_6 Depth=1
	s_or_b32 exec_lo, exec_lo, s3
	s_delay_alu instid0(VALU_DEP_2)
	s_and_saveexec_b32 s0, s2
	s_cbranch_execnz .LBB58_25
.LBB58_20:                              ;   in Loop: Header=BB58_6 Depth=1
	s_or_b32 exec_lo, exec_lo, s0
	s_and_saveexec_b32 s2, vcc_lo
	s_cbranch_execz .LBB58_22
.LBB58_21:                              ;   in Loop: Header=BB58_6 Depth=1
	v_add_nc_u32_e32 v12, s7, v7
	v_subrev_nc_u32_e32 v16, s5, v10
	v_cmp_le_i32_e64 s0, s5, v10
	v_cmp_gt_i32_e64 s1, s6, v10
	s_waitcnt lgkmcnt(0)
	v_ashrrev_i32_e32 v13, 31, v12
	v_ashrrev_i32_e32 v17, 31, v16
	s_delay_alu instid0(VALU_DEP_3) | instskip(NEXT) | instid1(SALU_CYCLE_1)
	s_and_b32 s0, s0, s1
	s_and_b32 s0, s15, s0
	s_delay_alu instid0(VALU_DEP_2) | instskip(SKIP_3) | instid1(VALU_DEP_4)
	v_lshlrev_b64 v[14:15], 2, v[12:13]
	v_lshlrev_b64 v[12:13], 3, v[12:13]
	v_cndmask_b32_e64 v17, 0, v17, s0
	v_cndmask_b32_e64 v16, 64, v16, s0
	v_add_co_u32 v18, s0, s12, v14
	s_delay_alu instid0(VALU_DEP_1) | instskip(SKIP_1) | instid1(VALU_DEP_1)
	v_add_co_ci_u32_e64 v19, s0, s13, v15, s0
	v_add_co_u32 v12, s0, s8, v12
	v_add_co_ci_u32_e64 v13, s0, s9, v13, s0
	v_add_co_u32 v14, s0, s10, v14
	s_delay_alu instid0(VALU_DEP_1)
	v_add_co_ci_u32_e64 v15, s0, s11, v15, s0
	global_store_b32 v[18:19], v11, off
	global_store_b64 v[12:13], v[16:17], off
	global_store_b32 v[14:15], v1, off
.LBB58_22:                              ;   in Loop: Header=BB58_6 Depth=1
	s_or_b32 exec_lo, exec_lo, s2
	v_ashrrev_i32_e32 v11, 31, v10
	s_add_i32 s7, s7, 1
	s_delay_alu instid0(SALU_CYCLE_1) | instskip(SKIP_1) | instid1(VALU_DEP_1)
	s_cmp_lt_i32 s7, s4
	s_cselect_b32 s1, -1, 0
	v_lshrrev_b32_e32 v12, 30, v11
	s_delay_alu instid0(VALU_DEP_1) | instskip(SKIP_1) | instid1(VALU_DEP_1)
	v_add_nc_u32_e32 v12, v10, v12
	s_waitcnt lgkmcnt(0)
	v_ashrrev_i32_e32 v13, 31, v12
	v_ashrrev_i32_e32 v12, 2, v12
	s_delay_alu instid0(VALU_DEP_2) | instskip(NEXT) | instid1(VALU_DEP_1)
	v_lshrrev_b32_e32 v13, 28, v13
	v_add_nc_u32_e32 v13, v12, v13
	s_delay_alu instid0(VALU_DEP_1) | instskip(NEXT) | instid1(VALU_DEP_1)
	v_and_b32_e32 v13, -16, v13
	v_sub_nc_u32_e32 v13, v12, v13
	s_delay_alu instid0(VALU_DEP_1) | instskip(NEXT) | instid1(VALU_DEP_1)
	v_cmp_eq_u32_e64 s0, v2, v13
	s_and_b32 s1, s1, s0
	s_delay_alu instid0(SALU_CYCLE_1)
	s_and_saveexec_b32 s0, s1
	s_cbranch_execz .LBB58_5
; %bb.23:                               ;   in Loop: Header=BB58_6 Depth=1
	v_lshrrev_b32_e32 v11, 26, v11
	v_lshlrev_b32_e32 v12, 2, v12
	s_delay_alu instid0(VALU_DEP_2) | instskip(NEXT) | instid1(VALU_DEP_2)
	v_add_nc_u32_e32 v11, v10, v11
	v_sub_nc_u32_e32 v10, v10, v12
	s_delay_alu instid0(VALU_DEP_2) | instskip(NEXT) | instid1(VALU_DEP_1)
	v_ashrrev_i32_e32 v11, 6, v11
	v_lshl_add_u32 v10, v11, 2, v10
	s_delay_alu instid0(VALU_DEP_1)
	v_lshl_add_u32 v10, v10, 2, v0
	ds_store_b32 v10, v9
	s_branch .LBB58_5
.LBB58_24:                              ;   in Loop: Header=BB58_6 Depth=1
	v_cmp_eq_f32_e64 s0, v11, v12
	s_waitcnt lgkmcnt(0)
	v_cmp_lt_i32_e64 s1, v13, v10
	s_delay_alu instid0(VALU_DEP_1) | instskip(SKIP_2) | instid1(SALU_CYCLE_1)
	s_and_b32 s0, s0, s1
	s_and_not1_b32 s1, s2, exec_lo
	s_and_b32 s0, s0, exec_lo
	s_or_b32 s2, s1, s0
	s_or_b32 exec_lo, exec_lo, s3
	s_and_saveexec_b32 s0, s2
	s_cbranch_execz .LBB58_20
.LBB58_25:                              ;   in Loop: Header=BB58_6 Depth=1
	s_waitcnt lgkmcnt(0)
	v_dual_mov_b32 v11, v12 :: v_dual_mov_b32 v10, v13
	s_or_b32 exec_lo, exec_lo, s0
	s_and_saveexec_b32 s2, vcc_lo
	s_cbranch_execnz .LBB58_21
	s_branch .LBB58_22
.LBB58_26:
	s_nop 0
	s_sendmsg sendmsg(MSG_DEALLOC_VGPRS)
	s_endpgm
	.section	.rodata,"a",@progbits
	.p2align	6, 0x0
	.amdhsa_kernel _ZN4vllm3moe17topkGatingSoftmaxILi4ELi64ELi4ELi16ELi32ElEEvPKfPKbPfiPT4_Piiii
		.amdhsa_group_segment_fixed_size 2048
		.amdhsa_private_segment_fixed_size 0
		.amdhsa_kernarg_size 60
		.amdhsa_user_sgpr_count 15
		.amdhsa_user_sgpr_dispatch_ptr 1
		.amdhsa_user_sgpr_queue_ptr 0
		.amdhsa_user_sgpr_kernarg_segment_ptr 1
		.amdhsa_user_sgpr_dispatch_id 0
		.amdhsa_user_sgpr_private_segment_size 0
		.amdhsa_wavefront_size32 1
		.amdhsa_uses_dynamic_stack 0
		.amdhsa_enable_private_segment 0
		.amdhsa_system_sgpr_workgroup_id_x 1
		.amdhsa_system_sgpr_workgroup_id_y 0
		.amdhsa_system_sgpr_workgroup_id_z 0
		.amdhsa_system_sgpr_workgroup_info 0
		.amdhsa_system_vgpr_workitem_id 2
		.amdhsa_next_free_vgpr 25
		.amdhsa_next_free_sgpr 16
		.amdhsa_reserve_vcc 1
		.amdhsa_float_round_mode_32 0
		.amdhsa_float_round_mode_16_64 0
		.amdhsa_float_denorm_mode_32 3
		.amdhsa_float_denorm_mode_16_64 3
		.amdhsa_dx10_clamp 1
		.amdhsa_ieee_mode 1
		.amdhsa_fp16_overflow 0
		.amdhsa_workgroup_processor_mode 1
		.amdhsa_memory_ordered 1
		.amdhsa_forward_progress 0
		.amdhsa_shared_vgpr_count 0
		.amdhsa_exception_fp_ieee_invalid_op 0
		.amdhsa_exception_fp_denorm_src 0
		.amdhsa_exception_fp_ieee_div_zero 0
		.amdhsa_exception_fp_ieee_overflow 0
		.amdhsa_exception_fp_ieee_underflow 0
		.amdhsa_exception_fp_ieee_inexact 0
		.amdhsa_exception_int_div_zero 0
	.end_amdhsa_kernel
	.section	.text._ZN4vllm3moe17topkGatingSoftmaxILi4ELi64ELi4ELi16ELi32ElEEvPKfPKbPfiPT4_Piiii,"axG",@progbits,_ZN4vllm3moe17topkGatingSoftmaxILi4ELi64ELi4ELi16ELi32ElEEvPKfPKbPfiPT4_Piiii,comdat
.Lfunc_end58:
	.size	_ZN4vllm3moe17topkGatingSoftmaxILi4ELi64ELi4ELi16ELi32ElEEvPKfPKbPfiPT4_Piiii, .Lfunc_end58-_ZN4vllm3moe17topkGatingSoftmaxILi4ELi64ELi4ELi16ELi32ElEEvPKfPKbPfiPT4_Piiii
                                        ; -- End function
	.section	.AMDGPU.csdata,"",@progbits
; Kernel info:
; codeLenInByte = 2096
; NumSgprs: 18
; NumVgprs: 25
; ScratchSize: 0
; MemoryBound: 0
; FloatMode: 240
; IeeeMode: 1
; LDSByteSize: 2048 bytes/workgroup (compile time only)
; SGPRBlocks: 2
; VGPRBlocks: 3
; NumSGPRsForWavesPerEU: 18
; NumVGPRsForWavesPerEU: 25
; Occupancy: 16
; WaveLimiterHint : 0
; COMPUTE_PGM_RSRC2:SCRATCH_EN: 0
; COMPUTE_PGM_RSRC2:USER_SGPR: 15
; COMPUTE_PGM_RSRC2:TRAP_HANDLER: 0
; COMPUTE_PGM_RSRC2:TGID_X_EN: 1
; COMPUTE_PGM_RSRC2:TGID_Y_EN: 0
; COMPUTE_PGM_RSRC2:TGID_Z_EN: 0
; COMPUTE_PGM_RSRC2:TIDIG_COMP_CNT: 2
	.section	.text._ZN4vllm3moe17topkGatingSoftmaxILi4ELi128ELi4ELi16ELi64ElEEvPKfPKbPfiPT4_Piiii,"axG",@progbits,_ZN4vllm3moe17topkGatingSoftmaxILi4ELi128ELi4ELi16ELi64ElEEvPKfPKbPfiPT4_Piiii,comdat
	.protected	_ZN4vllm3moe17topkGatingSoftmaxILi4ELi128ELi4ELi16ELi64ElEEvPKfPKbPfiPT4_Piiii ; -- Begin function _ZN4vllm3moe17topkGatingSoftmaxILi4ELi128ELi4ELi16ELi64ElEEvPKfPKbPfiPT4_Piiii
	.globl	_ZN4vllm3moe17topkGatingSoftmaxILi4ELi128ELi4ELi16ELi64ElEEvPKfPKbPfiPT4_Piiii
	.p2align	8
	.type	_ZN4vllm3moe17topkGatingSoftmaxILi4ELi128ELi4ELi16ELi64ElEEvPKfPKbPfiPT4_Piiii,@function
_ZN4vllm3moe17topkGatingSoftmaxILi4ELi128ELi4ELi16ELi64ElEEvPKfPKbPfiPT4_Piiii: ; @_ZN4vllm3moe17topkGatingSoftmaxILi4ELi128ELi4ELi16ELi64ElEEvPKfPKbPfiPT4_Piiii
; %bb.0:
	s_load_b32 s14, s[2:3], 0x18
	v_bfe_u32 v8, v0, 10, 10
	v_and_b32_e32 v9, 0x3ff, v0
	s_lshl_b32 s4, s15, 3
	s_delay_alu instid0(VALU_DEP_2) | instskip(NEXT) | instid1(VALU_DEP_2)
	v_lshlrev_b32_e32 v1, 1, v8
	v_lshrrev_b32_e32 v2, 5, v9
	s_delay_alu instid0(VALU_DEP_1) | instskip(SKIP_2) | instid1(VALU_DEP_1)
	v_add3_u32 v1, s4, v1, v2
	s_mov_b32 s4, exec_lo
	s_waitcnt lgkmcnt(0)
	v_cmpx_gt_i32_e64 s14, v1
	s_cbranch_execz .LBB59_30
; %bb.1:
	s_clause 0x1
	s_load_b128 s[4:7], s[2:3], 0x0
	s_load_b64 s[12:13], s[2:3], 0x10
	s_mov_b32 s15, -1
	s_waitcnt lgkmcnt(0)
	s_cmp_eq_u64 s[6:7], 0
	s_cbranch_scc1 .LBB59_3
; %bb.2:
	v_ashrrev_i32_e32 v3, 31, v1
	v_add_co_u32 v2, vcc_lo, s6, v1
	s_delay_alu instid0(VALU_DEP_2) | instskip(SKIP_3) | instid1(VALU_DEP_1)
	v_add_co_ci_u32_e32 v3, vcc_lo, s7, v3, vcc_lo
	global_load_u8 v2, v[2:3], off
	s_waitcnt vmcnt(0)
	v_and_b32_e32 v2, 1, v2
	v_cmp_eq_u32_e32 vcc_lo, 1, v2
	s_xor_b32 s6, vcc_lo, -1
	s_delay_alu instid0(SALU_CYCLE_1)
	s_or_not1_b32 s15, s6, exec_lo
.LBB59_3:
	v_lshlrev_b32_e32 v3, 7, v1
	v_and_b32_e32 v2, 31, v9
	v_mbcnt_lo_u32_b32 v7, -1, 0
	s_load_b64 s[0:1], s[0:1], 0x4
	v_bfe_u32 v0, v0, 20, 10
	v_ashrrev_i32_e32 v4, 31, v3
	v_lshlrev_b32_e32 v5, 4, v2
	v_xor_b32_e32 v6, 8, v7
	s_delay_alu instid0(VALU_DEP_3) | instskip(NEXT) | instid1(VALU_DEP_1)
	v_lshlrev_b64 v[3:4], 2, v[3:4]
	v_add_co_u32 v3, vcc_lo, s4, v3
	s_delay_alu instid0(VALU_DEP_2) | instskip(SKIP_1) | instid1(VALU_DEP_2)
	v_add_co_ci_u32_e32 v4, vcc_lo, s5, v4, vcc_lo
	s_load_b128 s[4:7], s[2:3], 0x30
	v_add_co_u32 v3, vcc_lo, v3, v5
	s_delay_alu instid0(VALU_DEP_2)
	v_add_co_ci_u32_e32 v4, vcc_lo, 0, v4, vcc_lo
	s_waitcnt lgkmcnt(0)
	s_lshr_b32 s0, s0, 16
	s_mov_b32 s7, 0
	s_mul_i32 s0, s0, s1
	global_load_b128 v[10:13], v[3:4], off
	v_xor_b32_e32 v3, 16, v7
	v_mul_lo_u32 v9, s0, v9
	s_delay_alu instid0(VALU_DEP_2) | instskip(NEXT) | instid1(VALU_DEP_2)
	v_cmp_gt_i32_e32 vcc_lo, 32, v3
	v_mad_u32_u24 v8, v8, s1, v9
	s_cmp_lt_i32 s4, 1
	s_delay_alu instid0(VALU_DEP_1) | instskip(SKIP_4) | instid1(VALU_DEP_2)
	v_add_lshl_u32 v0, v8, v0, 4
	s_waitcnt vmcnt(0)
	v_dual_max_f32 v4, v11, v11 :: v_dual_max_f32 v5, v10, v10
	v_cndmask_b32_e32 v3, v7, v3, vcc_lo
	v_cmp_gt_i32_e32 vcc_lo, 32, v6
	v_dual_max_f32 v4, v5, v4 :: v_dual_lshlrev_b32 v3, 2, v3
	v_cndmask_b32_e32 v6, v7, v6, vcc_lo
	s_delay_alu instid0(VALU_DEP_2) | instskip(SKIP_4) | instid1(VALU_DEP_2)
	v_max3_f32 v5, v4, v12, v13
	ds_bpermute_b32 v4, v3, v5
	s_waitcnt lgkmcnt(0)
	v_max_f32_e32 v14, v4, v4
	v_lshlrev_b32_e32 v4, 2, v6
	v_max_f32_e32 v6, v5, v14
	v_xor_b32_e32 v14, 4, v7
	ds_bpermute_b32 v5, v4, v6
	v_cmp_gt_i32_e32 vcc_lo, 32, v14
	s_waitcnt lgkmcnt(0)
	v_dual_cndmask_b32 v14, v7, v14 :: v_dual_max_f32 v15, v5, v5
	s_delay_alu instid0(VALU_DEP_1)
	v_dual_max_f32 v14, v6, v15 :: v_dual_lshlrev_b32 v5, 2, v14
	v_xor_b32_e32 v15, 2, v7
	ds_bpermute_b32 v6, v5, v14
	v_cmp_gt_i32_e32 vcc_lo, 32, v15
	s_waitcnt lgkmcnt(0)
	v_dual_cndmask_b32 v15, v7, v15 :: v_dual_max_f32 v16, v6, v6
	s_delay_alu instid0(VALU_DEP_1) | instskip(SKIP_1) | instid1(VALU_DEP_1)
	v_max_f32_e32 v14, v14, v16
	v_xor_b32_e32 v16, 1, v7
	v_cmp_gt_i32_e32 vcc_lo, 32, v16
	s_delay_alu instid0(VALU_DEP_4) | instskip(SKIP_4) | instid1(VALU_DEP_1)
	v_dual_cndmask_b32 v7, v7, v16 :: v_dual_lshlrev_b32 v6, 2, v15
	ds_bpermute_b32 v15, v6, v14
	v_lshlrev_b32_e32 v7, 2, v7
	s_waitcnt lgkmcnt(0)
	v_max_f32_e32 v15, v15, v15
	v_max_f32_e32 v14, v14, v15
	ds_bpermute_b32 v15, v7, v14
	s_waitcnt lgkmcnt(0)
	v_max_f32_e32 v15, v15, v15
	s_delay_alu instid0(VALU_DEP_1) | instskip(NEXT) | instid1(VALU_DEP_1)
	v_max_f32_e32 v14, v14, v15
	v_sub_f32_e32 v11, v11, v14
	s_delay_alu instid0(VALU_DEP_1) | instskip(NEXT) | instid1(VALU_DEP_1)
	v_mul_f32_e32 v15, 0x3fb8aa3b, v11
	v_rndne_f32_e32 v21, v15
	v_fma_f32 v20, 0x3fb8aa3b, v11, -v15
	s_delay_alu instid0(VALU_DEP_2) | instskip(SKIP_1) | instid1(VALU_DEP_1)
	v_sub_f32_e32 v15, v15, v21
	v_sub_f32_e32 v13, v13, v14
	v_dual_sub_f32 v12, v12, v14 :: v_dual_mul_f32 v17, 0x3fb8aa3b, v13
	s_delay_alu instid0(VALU_DEP_1) | instskip(SKIP_1) | instid1(VALU_DEP_3)
	v_mul_f32_e32 v16, 0x3fb8aa3b, v12
	v_fmac_f32_e32 v20, 0x32a5705f, v11
	v_rndne_f32_e32 v25, v17
	v_sub_f32_e32 v10, v10, v14
	v_fma_f32 v24, 0x3fb8aa3b, v13, -v17
	s_delay_alu instid0(VALU_DEP_4) | instskip(SKIP_1) | instid1(VALU_DEP_4)
	v_add_f32_e32 v15, v15, v20
	v_fma_f32 v22, 0x3fb8aa3b, v12, -v16
	v_dual_sub_f32 v17, v17, v25 :: v_dual_mul_f32 v14, 0x3fb8aa3b, v10
	v_rndne_f32_e32 v23, v16
	s_delay_alu instid0(VALU_DEP_4)
	v_exp_f32_e32 v15, v15
	v_cmp_ngt_f32_e32 vcc_lo, 0xc2ce8ed0, v10
	v_fmac_f32_e32 v22, 0x32a5705f, v12
	v_fma_f32 v18, 0x3fb8aa3b, v10, -v14
	v_rndne_f32_e32 v19, v14
	v_sub_f32_e32 v16, v16, v23
	v_cvt_i32_f32_e32 v20, v23
	s_delay_alu instid0(VALU_DEP_4) | instskip(NEXT) | instid1(VALU_DEP_4)
	v_fmac_f32_e32 v18, 0x32a5705f, v10
	v_sub_f32_e32 v14, v14, v19
	v_fmac_f32_e32 v24, 0x32a5705f, v13
	s_delay_alu instid0(VALU_DEP_2) | instskip(SKIP_2) | instid1(VALU_DEP_4)
	v_add_f32_e32 v14, v14, v18
	v_cvt_i32_f32_e32 v18, v19
	v_cvt_i32_f32_e32 v19, v21
	v_add_f32_e32 v17, v17, v24
	v_cvt_i32_f32_e32 v21, v25
	v_exp_f32_e32 v14, v14
	s_delay_alu instid0(VALU_DEP_3) | instskip(NEXT) | instid1(VALU_DEP_3)
	v_ldexp_f32 v15, v15, v19
	v_exp_f32_e32 v17, v17
	s_waitcnt_depctr 0xfff
	v_ldexp_f32 v14, v14, v18
	v_ldexp_f32 v17, v17, v21
	s_delay_alu instid0(VALU_DEP_2) | instskip(SKIP_3) | instid1(VALU_DEP_2)
	v_cndmask_b32_e32 v14, 0, v14, vcc_lo
	v_cmp_ngt_f32_e32 vcc_lo, 0xc2ce8ed0, v11
	v_dual_cndmask_b32 v15, 0, v15 :: v_dual_add_f32 v16, v16, v22
	v_cmp_ngt_f32_e32 vcc_lo, 0xc2ce8ed0, v12
	v_exp_f32_e32 v16, v16
	s_waitcnt_depctr 0xfff
	v_ldexp_f32 v16, v16, v20
	s_delay_alu instid0(VALU_DEP_1)
	v_cndmask_b32_e32 v16, 0, v16, vcc_lo
	v_cmp_nlt_f32_e32 vcc_lo, 0x42b17218, v10
	v_cndmask_b32_e32 v10, 0x7f800000, v14, vcc_lo
	v_cmp_nlt_f32_e32 vcc_lo, 0x42b17218, v11
	v_cndmask_b32_e32 v11, 0x7f800000, v15, vcc_lo
	v_cmp_ngt_f32_e32 vcc_lo, 0xc2ce8ed0, v13
	s_delay_alu instid0(VALU_DEP_2) | instskip(SKIP_3) | instid1(VALU_DEP_2)
	v_dual_add_f32 v15, v10, v11 :: v_dual_cndmask_b32 v14, 0, v17
	v_cmp_nlt_f32_e32 vcc_lo, 0x42b17218, v12
	v_cndmask_b32_e32 v12, 0x7f800000, v16, vcc_lo
	v_cmp_nlt_f32_e32 vcc_lo, 0x42b17218, v13
	v_dual_cndmask_b32 v13, 0x7f800000, v14 :: v_dual_add_f32 v14, v15, v12
	s_delay_alu instid0(VALU_DEP_1)
	v_add_f32_e32 v14, v14, v13
	ds_bpermute_b32 v15, v3, v14
	s_waitcnt lgkmcnt(0)
	v_add_f32_e32 v14, v14, v15
	ds_bpermute_b32 v15, v4, v14
	s_waitcnt lgkmcnt(0)
	;; [unrolled: 3-line block ×5, first 2 shown]
	v_add_f32_e32 v14, v14, v15
	s_delay_alu instid0(VALU_DEP_1) | instskip(SKIP_1) | instid1(VALU_DEP_2)
	v_div_scale_f32 v15, null, v14, v14, 1.0
	v_div_scale_f32 v18, vcc_lo, 1.0, v14, 1.0
	v_rcp_f32_e32 v16, v15
	s_waitcnt_depctr 0xfff
	v_fma_f32 v17, -v15, v16, 1.0
	s_delay_alu instid0(VALU_DEP_1) | instskip(NEXT) | instid1(VALU_DEP_1)
	v_fmac_f32_e32 v16, v17, v16
	v_mul_f32_e32 v17, v18, v16
	s_delay_alu instid0(VALU_DEP_1) | instskip(NEXT) | instid1(VALU_DEP_1)
	v_fma_f32 v19, -v15, v17, v18
	v_fmac_f32_e32 v17, v19, v16
	s_delay_alu instid0(VALU_DEP_1) | instskip(NEXT) | instid1(VALU_DEP_1)
	v_fma_f32 v15, -v15, v17, v18
	v_div_fmas_f32 v15, v15, v16, v17
	s_delay_alu instid0(VALU_DEP_1) | instskip(NEXT) | instid1(VALU_DEP_1)
	v_div_fixup_f32 v14, v15, v14, 1.0
	v_mul_f32_e32 v9, v14, v11
	v_mul_f32_e32 v11, v14, v13
	;; [unrolled: 1-line block ×4, first 2 shown]
	ds_store_b128 v0, v[8:11]
	s_cbranch_scc1 .LBB59_30
; %bb.4:
	s_load_b128 s[8:11], s[2:3], 0x20
	v_mul_lo_u32 v8, v1, s4
	v_dual_mov_b32 v10, 0xc61c4000 :: v_dual_lshlrev_b32 v9, 2, v2
	v_cmp_eq_u32_e32 vcc_lo, 0, v2
	s_branch .LBB59_6
.LBB59_5:                               ;   in Loop: Header=BB59_6 Depth=1
	s_or_b32 exec_lo, exec_lo, s0
	v_add_nc_u32_e32 v1, s14, v1
	s_cmp_lg_u32 s4, s7
	s_cbranch_scc0 .LBB59_30
.LBB59_6:                               ; =>This Inner Loop Header: Depth=1
	ds_load_b128 v[11:14], v0
	s_mov_b32 s3, exec_lo
	s_waitcnt lgkmcnt(0)
	v_cmp_gt_f32_e64 s0, v12, v11
	s_delay_alu instid0(VALU_DEP_1) | instskip(SKIP_1) | instid1(VALU_DEP_2)
	v_cndmask_b32_e64 v11, v11, v12, s0
	v_cndmask_b32_e64 v12, 0, 1, s0
	v_cmp_gt_f32_e64 s0, v13, v11
	s_delay_alu instid0(VALU_DEP_1) | instskip(NEXT) | instid1(VALU_DEP_3)
	v_cndmask_b32_e64 v11, v11, v13, s0
	v_cndmask_b32_e64 v13, v12, 2, s0
	s_delay_alu instid0(VALU_DEP_2) | instskip(NEXT) | instid1(VALU_DEP_1)
	v_cmp_gt_f32_e64 s0, v14, v11
	v_cndmask_b32_e64 v12, v11, v14, s0
	s_delay_alu instid0(VALU_DEP_3)
	v_cndmask_b32_e64 v11, v13, 3, s0
	ds_bpermute_b32 v13, v3, v12
	v_or_b32_e32 v11, v9, v11
	ds_bpermute_b32 v14, v3, v11
	s_waitcnt lgkmcnt(1)
	v_cmp_lt_f32_e64 s2, v12, v13
	v_cmpx_nlt_f32_e32 v12, v13
	s_cbranch_execz .LBB59_8
; %bb.7:                                ;   in Loop: Header=BB59_6 Depth=1
	v_cmp_eq_f32_e64 s0, v12, v13
	s_waitcnt lgkmcnt(0)
	v_cmp_lt_i32_e64 s1, v14, v11
	s_delay_alu instid0(VALU_DEP_1) | instskip(SKIP_2) | instid1(SALU_CYCLE_1)
	s_and_b32 s0, s0, s1
	s_and_not1_b32 s1, s2, exec_lo
	s_and_b32 s0, s0, exec_lo
	s_or_b32 s2, s1, s0
.LBB59_8:                               ;   in Loop: Header=BB59_6 Depth=1
	s_or_b32 exec_lo, exec_lo, s3
	s_delay_alu instid0(VALU_DEP_2)
	s_and_saveexec_b32 s0, s2
	s_cbranch_execz .LBB59_10
; %bb.9:                                ;   in Loop: Header=BB59_6 Depth=1
	s_waitcnt lgkmcnt(0)
	v_dual_mov_b32 v12, v13 :: v_dual_mov_b32 v11, v14
.LBB59_10:                              ;   in Loop: Header=BB59_6 Depth=1
	s_or_b32 exec_lo, exec_lo, s0
	s_waitcnt lgkmcnt(0)
	ds_bpermute_b32 v14, v4, v12
	ds_bpermute_b32 v13, v4, v11
	s_mov_b32 s3, exec_lo
	s_waitcnt lgkmcnt(1)
	v_cmp_lt_f32_e64 s2, v12, v14
	v_cmpx_nlt_f32_e32 v12, v14
	s_cbranch_execz .LBB59_12
; %bb.11:                               ;   in Loop: Header=BB59_6 Depth=1
	v_cmp_eq_f32_e64 s0, v12, v14
	s_waitcnt lgkmcnt(0)
	v_cmp_lt_i32_e64 s1, v13, v11
	s_delay_alu instid0(VALU_DEP_1) | instskip(SKIP_2) | instid1(SALU_CYCLE_1)
	s_and_b32 s0, s0, s1
	s_and_not1_b32 s1, s2, exec_lo
	s_and_b32 s0, s0, exec_lo
	s_or_b32 s2, s1, s0
.LBB59_12:                              ;   in Loop: Header=BB59_6 Depth=1
	s_or_b32 exec_lo, exec_lo, s3
	s_delay_alu instid0(VALU_DEP_2)
	s_and_saveexec_b32 s0, s2
	s_cbranch_execz .LBB59_14
; %bb.13:                               ;   in Loop: Header=BB59_6 Depth=1
	s_waitcnt lgkmcnt(0)
	v_dual_mov_b32 v12, v14 :: v_dual_mov_b32 v11, v13
.LBB59_14:                              ;   in Loop: Header=BB59_6 Depth=1
	s_or_b32 exec_lo, exec_lo, s0
	ds_bpermute_b32 v14, v5, v12
	s_waitcnt lgkmcnt(1)
	ds_bpermute_b32 v13, v5, v11
	s_mov_b32 s3, exec_lo
	s_waitcnt lgkmcnt(1)
	v_cmp_lt_f32_e64 s2, v12, v14
	v_cmpx_nlt_f32_e32 v12, v14
	s_cbranch_execz .LBB59_16
; %bb.15:                               ;   in Loop: Header=BB59_6 Depth=1
	v_cmp_eq_f32_e64 s0, v12, v14
	s_waitcnt lgkmcnt(0)
	v_cmp_lt_i32_e64 s1, v13, v11
	s_delay_alu instid0(VALU_DEP_1) | instskip(SKIP_2) | instid1(SALU_CYCLE_1)
	s_and_b32 s0, s0, s1
	s_and_not1_b32 s1, s2, exec_lo
	s_and_b32 s0, s0, exec_lo
	s_or_b32 s2, s1, s0
.LBB59_16:                              ;   in Loop: Header=BB59_6 Depth=1
	s_or_b32 exec_lo, exec_lo, s3
	s_delay_alu instid0(VALU_DEP_2)
	s_and_saveexec_b32 s0, s2
	s_cbranch_execz .LBB59_18
; %bb.17:                               ;   in Loop: Header=BB59_6 Depth=1
	s_waitcnt lgkmcnt(0)
	v_dual_mov_b32 v12, v14 :: v_dual_mov_b32 v11, v13
.LBB59_18:                              ;   in Loop: Header=BB59_6 Depth=1
	s_or_b32 exec_lo, exec_lo, s0
	ds_bpermute_b32 v14, v6, v12
	s_waitcnt lgkmcnt(1)
	ds_bpermute_b32 v13, v6, v11
	s_mov_b32 s3, exec_lo
	s_waitcnt lgkmcnt(1)
	v_cmp_lt_f32_e64 s2, v12, v14
	v_cmpx_nlt_f32_e32 v12, v14
	s_cbranch_execz .LBB59_20
; %bb.19:                               ;   in Loop: Header=BB59_6 Depth=1
	v_cmp_eq_f32_e64 s0, v12, v14
	s_waitcnt lgkmcnt(0)
	v_cmp_lt_i32_e64 s1, v13, v11
	s_delay_alu instid0(VALU_DEP_1) | instskip(SKIP_2) | instid1(SALU_CYCLE_1)
	s_and_b32 s0, s0, s1
	s_and_not1_b32 s1, s2, exec_lo
	s_and_b32 s0, s0, exec_lo
	s_or_b32 s2, s1, s0
.LBB59_20:                              ;   in Loop: Header=BB59_6 Depth=1
	s_or_b32 exec_lo, exec_lo, s3
	s_delay_alu instid0(VALU_DEP_2)
	s_and_saveexec_b32 s0, s2
	s_cbranch_execz .LBB59_22
; %bb.21:                               ;   in Loop: Header=BB59_6 Depth=1
	s_waitcnt lgkmcnt(0)
	v_dual_mov_b32 v12, v14 :: v_dual_mov_b32 v11, v13
.LBB59_22:                              ;   in Loop: Header=BB59_6 Depth=1
	s_or_b32 exec_lo, exec_lo, s0
	s_waitcnt lgkmcnt(0)
	ds_bpermute_b32 v13, v7, v12
	ds_bpermute_b32 v14, v7, v11
	s_mov_b32 s3, exec_lo
	s_waitcnt lgkmcnt(1)
	v_cmp_lt_f32_e64 s2, v12, v13
	v_cmpx_nlt_f32_e32 v12, v13
	s_cbranch_execnz .LBB59_28
; %bb.23:                               ;   in Loop: Header=BB59_6 Depth=1
	s_or_b32 exec_lo, exec_lo, s3
	s_delay_alu instid0(VALU_DEP_2)
	s_and_saveexec_b32 s0, s2
	s_cbranch_execnz .LBB59_29
.LBB59_24:                              ;   in Loop: Header=BB59_6 Depth=1
	s_or_b32 exec_lo, exec_lo, s0
	s_and_saveexec_b32 s2, vcc_lo
	s_cbranch_execz .LBB59_26
.LBB59_25:                              ;   in Loop: Header=BB59_6 Depth=1
	v_add_nc_u32_e32 v13, s7, v8
	v_subrev_nc_u32_e32 v17, s5, v11
	v_cmp_le_i32_e64 s0, s5, v11
	v_cmp_gt_i32_e64 s1, s6, v11
	s_waitcnt lgkmcnt(0)
	v_ashrrev_i32_e32 v14, 31, v13
	v_ashrrev_i32_e32 v18, 31, v17
	s_delay_alu instid0(VALU_DEP_3) | instskip(NEXT) | instid1(SALU_CYCLE_1)
	s_and_b32 s0, s0, s1
	s_and_b32 s0, s15, s0
	s_delay_alu instid0(VALU_DEP_2) | instskip(SKIP_3) | instid1(VALU_DEP_4)
	v_lshlrev_b64 v[15:16], 2, v[13:14]
	v_lshlrev_b64 v[13:14], 3, v[13:14]
	v_cndmask_b32_e64 v18, 0, v18, s0
	v_cndmask_b32_e64 v17, 0x80, v17, s0
	v_add_co_u32 v19, s0, s12, v15
	s_delay_alu instid0(VALU_DEP_1) | instskip(SKIP_1) | instid1(VALU_DEP_1)
	v_add_co_ci_u32_e64 v20, s0, s13, v16, s0
	v_add_co_u32 v13, s0, s8, v13
	v_add_co_ci_u32_e64 v14, s0, s9, v14, s0
	v_add_co_u32 v15, s0, s10, v15
	s_delay_alu instid0(VALU_DEP_1)
	v_add_co_ci_u32_e64 v16, s0, s11, v16, s0
	global_store_b32 v[19:20], v12, off
	global_store_b64 v[13:14], v[17:18], off
	global_store_b32 v[15:16], v1, off
.LBB59_26:                              ;   in Loop: Header=BB59_6 Depth=1
	s_or_b32 exec_lo, exec_lo, s2
	v_ashrrev_i32_e32 v12, 31, v11
	s_add_i32 s7, s7, 1
	s_delay_alu instid0(SALU_CYCLE_1) | instskip(SKIP_1) | instid1(VALU_DEP_1)
	s_cmp_lt_i32 s7, s4
	s_cselect_b32 s1, -1, 0
	v_lshrrev_b32_e32 v13, 30, v12
	s_delay_alu instid0(VALU_DEP_1) | instskip(SKIP_1) | instid1(VALU_DEP_1)
	v_add_nc_u32_e32 v13, v11, v13
	s_waitcnt lgkmcnt(0)
	v_ashrrev_i32_e32 v14, 31, v13
	v_ashrrev_i32_e32 v13, 2, v13
	s_delay_alu instid0(VALU_DEP_2) | instskip(NEXT) | instid1(VALU_DEP_1)
	v_lshrrev_b32_e32 v14, 27, v14
	v_add_nc_u32_e32 v14, v13, v14
	s_delay_alu instid0(VALU_DEP_1) | instskip(NEXT) | instid1(VALU_DEP_1)
	v_and_b32_e32 v14, 0xffffffe0, v14
	v_sub_nc_u32_e32 v14, v13, v14
	s_delay_alu instid0(VALU_DEP_1) | instskip(NEXT) | instid1(VALU_DEP_1)
	v_cmp_eq_u32_e64 s0, v2, v14
	s_and_b32 s1, s1, s0
	s_delay_alu instid0(SALU_CYCLE_1)
	s_and_saveexec_b32 s0, s1
	s_cbranch_execz .LBB59_5
; %bb.27:                               ;   in Loop: Header=BB59_6 Depth=1
	v_lshrrev_b32_e32 v12, 25, v12
	v_lshlrev_b32_e32 v13, 2, v13
	s_delay_alu instid0(VALU_DEP_2) | instskip(NEXT) | instid1(VALU_DEP_2)
	v_add_nc_u32_e32 v12, v11, v12
	v_sub_nc_u32_e32 v11, v11, v13
	s_delay_alu instid0(VALU_DEP_2) | instskip(NEXT) | instid1(VALU_DEP_1)
	v_ashrrev_i32_e32 v12, 7, v12
	v_lshl_add_u32 v11, v12, 2, v11
	s_delay_alu instid0(VALU_DEP_1)
	v_lshl_add_u32 v11, v11, 2, v0
	ds_store_b32 v11, v10
	s_branch .LBB59_5
.LBB59_28:                              ;   in Loop: Header=BB59_6 Depth=1
	v_cmp_eq_f32_e64 s0, v12, v13
	s_waitcnt lgkmcnt(0)
	v_cmp_lt_i32_e64 s1, v14, v11
	s_delay_alu instid0(VALU_DEP_1) | instskip(SKIP_2) | instid1(SALU_CYCLE_1)
	s_and_b32 s0, s0, s1
	s_and_not1_b32 s1, s2, exec_lo
	s_and_b32 s0, s0, exec_lo
	s_or_b32 s2, s1, s0
	s_or_b32 exec_lo, exec_lo, s3
	s_and_saveexec_b32 s0, s2
	s_cbranch_execz .LBB59_24
.LBB59_29:                              ;   in Loop: Header=BB59_6 Depth=1
	s_waitcnt lgkmcnt(0)
	v_dual_mov_b32 v12, v13 :: v_dual_mov_b32 v11, v14
	s_or_b32 exec_lo, exec_lo, s0
	s_and_saveexec_b32 s2, vcc_lo
	s_cbranch_execnz .LBB59_25
	s_branch .LBB59_26
.LBB59_30:
	s_nop 0
	s_sendmsg sendmsg(MSG_DEALLOC_VGPRS)
	s_endpgm
	.section	.rodata,"a",@progbits
	.p2align	6, 0x0
	.amdhsa_kernel _ZN4vllm3moe17topkGatingSoftmaxILi4ELi128ELi4ELi16ELi64ElEEvPKfPKbPfiPT4_Piiii
		.amdhsa_group_segment_fixed_size 4096
		.amdhsa_private_segment_fixed_size 0
		.amdhsa_kernarg_size 60
		.amdhsa_user_sgpr_count 15
		.amdhsa_user_sgpr_dispatch_ptr 1
		.amdhsa_user_sgpr_queue_ptr 0
		.amdhsa_user_sgpr_kernarg_segment_ptr 1
		.amdhsa_user_sgpr_dispatch_id 0
		.amdhsa_user_sgpr_private_segment_size 0
		.amdhsa_wavefront_size32 1
		.amdhsa_uses_dynamic_stack 0
		.amdhsa_enable_private_segment 0
		.amdhsa_system_sgpr_workgroup_id_x 1
		.amdhsa_system_sgpr_workgroup_id_y 0
		.amdhsa_system_sgpr_workgroup_id_z 0
		.amdhsa_system_sgpr_workgroup_info 0
		.amdhsa_system_vgpr_workitem_id 2
		.amdhsa_next_free_vgpr 26
		.amdhsa_next_free_sgpr 16
		.amdhsa_reserve_vcc 1
		.amdhsa_float_round_mode_32 0
		.amdhsa_float_round_mode_16_64 0
		.amdhsa_float_denorm_mode_32 3
		.amdhsa_float_denorm_mode_16_64 3
		.amdhsa_dx10_clamp 1
		.amdhsa_ieee_mode 1
		.amdhsa_fp16_overflow 0
		.amdhsa_workgroup_processor_mode 1
		.amdhsa_memory_ordered 1
		.amdhsa_forward_progress 0
		.amdhsa_shared_vgpr_count 0
		.amdhsa_exception_fp_ieee_invalid_op 0
		.amdhsa_exception_fp_denorm_src 0
		.amdhsa_exception_fp_ieee_div_zero 0
		.amdhsa_exception_fp_ieee_overflow 0
		.amdhsa_exception_fp_ieee_underflow 0
		.amdhsa_exception_fp_ieee_inexact 0
		.amdhsa_exception_int_div_zero 0
	.end_amdhsa_kernel
	.section	.text._ZN4vllm3moe17topkGatingSoftmaxILi4ELi128ELi4ELi16ELi64ElEEvPKfPKbPfiPT4_Piiii,"axG",@progbits,_ZN4vllm3moe17topkGatingSoftmaxILi4ELi128ELi4ELi16ELi64ElEEvPKfPKbPfiPT4_Piiii,comdat
.Lfunc_end59:
	.size	_ZN4vllm3moe17topkGatingSoftmaxILi4ELi128ELi4ELi16ELi64ElEEvPKfPKbPfiPT4_Piiii, .Lfunc_end59-_ZN4vllm3moe17topkGatingSoftmaxILi4ELi128ELi4ELi16ELi64ElEEvPKfPKbPfiPT4_Piiii
                                        ; -- End function
	.section	.AMDGPU.csdata,"",@progbits
; Kernel info:
; codeLenInByte = 2272
; NumSgprs: 18
; NumVgprs: 26
; ScratchSize: 0
; MemoryBound: 0
; FloatMode: 240
; IeeeMode: 1
; LDSByteSize: 4096 bytes/workgroup (compile time only)
; SGPRBlocks: 2
; VGPRBlocks: 3
; NumSGPRsForWavesPerEU: 18
; NumVGPRsForWavesPerEU: 26
; Occupancy: 16
; WaveLimiterHint : 0
; COMPUTE_PGM_RSRC2:SCRATCH_EN: 0
; COMPUTE_PGM_RSRC2:USER_SGPR: 15
; COMPUTE_PGM_RSRC2:TRAP_HANDLER: 0
; COMPUTE_PGM_RSRC2:TGID_X_EN: 1
; COMPUTE_PGM_RSRC2:TGID_Y_EN: 0
; COMPUTE_PGM_RSRC2:TGID_Z_EN: 0
; COMPUTE_PGM_RSRC2:TIDIG_COMP_CNT: 2
	.section	.text._ZN4vllm3moe17topkGatingSoftmaxILi4ELi128ELi4ELi16ELi32ElEEvPKfPKbPfiPT4_Piiii,"axG",@progbits,_ZN4vllm3moe17topkGatingSoftmaxILi4ELi128ELi4ELi16ELi32ElEEvPKfPKbPfiPT4_Piiii,comdat
	.protected	_ZN4vllm3moe17topkGatingSoftmaxILi4ELi128ELi4ELi16ELi32ElEEvPKfPKbPfiPT4_Piiii ; -- Begin function _ZN4vllm3moe17topkGatingSoftmaxILi4ELi128ELi4ELi16ELi32ElEEvPKfPKbPfiPT4_Piiii
	.globl	_ZN4vllm3moe17topkGatingSoftmaxILi4ELi128ELi4ELi16ELi32ElEEvPKfPKbPfiPT4_Piiii
	.p2align	8
	.type	_ZN4vllm3moe17topkGatingSoftmaxILi4ELi128ELi4ELi16ELi32ElEEvPKfPKbPfiPT4_Piiii,@function
_ZN4vllm3moe17topkGatingSoftmaxILi4ELi128ELi4ELi16ELi32ElEEvPKfPKbPfiPT4_Piiii: ; @_ZN4vllm3moe17topkGatingSoftmaxILi4ELi128ELi4ELi16ELi32ElEEvPKfPKbPfiPT4_Piiii
; %bb.0:
	s_load_b32 s14, s[2:3], 0x18
	v_and_b32_e32 v8, 0x3ff, v0
	v_bfe_u32 v9, v0, 10, 10
	s_lshl_b32 s4, s15, 2
	s_delay_alu instid0(VALU_DEP_2) | instskip(NEXT) | instid1(VALU_DEP_1)
	v_lshrrev_b32_e32 v1, 5, v8
	v_add3_u32 v1, s4, v9, v1
	s_mov_b32 s4, exec_lo
	s_waitcnt lgkmcnt(0)
	s_delay_alu instid0(VALU_DEP_1)
	v_cmpx_gt_i32_e64 s14, v1
	s_cbranch_execz .LBB60_30
; %bb.1:
	s_clause 0x1
	s_load_b128 s[4:7], s[2:3], 0x0
	s_load_b64 s[12:13], s[2:3], 0x10
	s_mov_b32 s15, -1
	s_waitcnt lgkmcnt(0)
	s_cmp_eq_u64 s[6:7], 0
	s_cbranch_scc1 .LBB60_3
; %bb.2:
	v_ashrrev_i32_e32 v3, 31, v1
	v_add_co_u32 v2, vcc_lo, s6, v1
	s_delay_alu instid0(VALU_DEP_2) | instskip(SKIP_3) | instid1(VALU_DEP_1)
	v_add_co_ci_u32_e32 v3, vcc_lo, s7, v3, vcc_lo
	global_load_u8 v2, v[2:3], off
	s_waitcnt vmcnt(0)
	v_and_b32_e32 v2, 1, v2
	v_cmp_eq_u32_e32 vcc_lo, 1, v2
	s_xor_b32 s6, vcc_lo, -1
	s_delay_alu instid0(SALU_CYCLE_1)
	s_or_not1_b32 s15, s6, exec_lo
.LBB60_3:
	v_lshlrev_b32_e32 v3, 7, v1
	v_and_b32_e32 v2, 31, v8
	v_mbcnt_lo_u32_b32 v7, -1, 0
	s_load_b64 s[0:1], s[0:1], 0x4
	v_bfe_u32 v0, v0, 20, 10
	v_ashrrev_i32_e32 v4, 31, v3
	v_lshlrev_b32_e32 v5, 4, v2
	v_xor_b32_e32 v6, 8, v7
	s_delay_alu instid0(VALU_DEP_3) | instskip(NEXT) | instid1(VALU_DEP_1)
	v_lshlrev_b64 v[3:4], 2, v[3:4]
	v_add_co_u32 v3, vcc_lo, s4, v3
	s_delay_alu instid0(VALU_DEP_2) | instskip(SKIP_1) | instid1(VALU_DEP_2)
	v_add_co_ci_u32_e32 v4, vcc_lo, s5, v4, vcc_lo
	s_load_b128 s[4:7], s[2:3], 0x30
	v_add_co_u32 v3, vcc_lo, v3, v5
	s_delay_alu instid0(VALU_DEP_2)
	v_add_co_ci_u32_e32 v4, vcc_lo, 0, v4, vcc_lo
	s_waitcnt lgkmcnt(0)
	v_mul_u32_u24_e32 v9, s1, v9
	s_lshr_b32 s0, s0, 16
	s_mov_b32 s7, 0
	global_load_b128 v[10:13], v[3:4], off
	v_xor_b32_e32 v3, 16, v7
	s_mul_i32 s0, s0, s1
	s_delay_alu instid0(SALU_CYCLE_1) | instskip(NEXT) | instid1(VALU_DEP_2)
	v_mad_u32_u24 v8, s0, v8, v9
	v_cmp_gt_i32_e32 vcc_lo, 32, v3
	s_delay_alu instid0(VALU_DEP_2)
	v_add_lshl_u32 v0, v8, v0, 4
	s_cmp_lt_i32 s4, 1
	s_waitcnt vmcnt(0)
	v_dual_max_f32 v4, v11, v11 :: v_dual_max_f32 v5, v10, v10
	v_cndmask_b32_e32 v3, v7, v3, vcc_lo
	v_cmp_gt_i32_e32 vcc_lo, 32, v6
	s_delay_alu instid0(VALU_DEP_2) | instskip(SKIP_1) | instid1(VALU_DEP_2)
	v_dual_max_f32 v4, v5, v4 :: v_dual_lshlrev_b32 v3, 2, v3
	v_cndmask_b32_e32 v6, v7, v6, vcc_lo
	v_max3_f32 v5, v4, v12, v13
	ds_bpermute_b32 v4, v3, v5
	s_waitcnt lgkmcnt(0)
	v_max_f32_e32 v14, v4, v4
	v_lshlrev_b32_e32 v4, 2, v6
	s_delay_alu instid0(VALU_DEP_2)
	v_max_f32_e32 v6, v5, v14
	v_xor_b32_e32 v14, 4, v7
	ds_bpermute_b32 v5, v4, v6
	v_cmp_gt_i32_e32 vcc_lo, 32, v14
	s_waitcnt lgkmcnt(0)
	v_dual_cndmask_b32 v14, v7, v14 :: v_dual_max_f32 v15, v5, v5
	s_delay_alu instid0(VALU_DEP_1)
	v_dual_max_f32 v14, v6, v15 :: v_dual_lshlrev_b32 v5, 2, v14
	v_xor_b32_e32 v15, 2, v7
	ds_bpermute_b32 v6, v5, v14
	v_cmp_gt_i32_e32 vcc_lo, 32, v15
	s_waitcnt lgkmcnt(0)
	v_dual_cndmask_b32 v15, v7, v15 :: v_dual_max_f32 v16, v6, v6
	s_delay_alu instid0(VALU_DEP_1) | instskip(SKIP_1) | instid1(VALU_DEP_1)
	v_max_f32_e32 v14, v14, v16
	v_xor_b32_e32 v16, 1, v7
	v_cmp_gt_i32_e32 vcc_lo, 32, v16
	s_delay_alu instid0(VALU_DEP_4) | instskip(SKIP_4) | instid1(VALU_DEP_1)
	v_dual_cndmask_b32 v7, v7, v16 :: v_dual_lshlrev_b32 v6, 2, v15
	ds_bpermute_b32 v15, v6, v14
	v_lshlrev_b32_e32 v7, 2, v7
	s_waitcnt lgkmcnt(0)
	v_max_f32_e32 v15, v15, v15
	v_max_f32_e32 v14, v14, v15
	ds_bpermute_b32 v15, v7, v14
	s_waitcnt lgkmcnt(0)
	v_max_f32_e32 v15, v15, v15
	s_delay_alu instid0(VALU_DEP_1) | instskip(NEXT) | instid1(VALU_DEP_1)
	v_max_f32_e32 v14, v14, v15
	v_sub_f32_e32 v11, v11, v14
	s_delay_alu instid0(VALU_DEP_1) | instskip(NEXT) | instid1(VALU_DEP_1)
	v_mul_f32_e32 v15, 0x3fb8aa3b, v11
	v_rndne_f32_e32 v21, v15
	v_fma_f32 v20, 0x3fb8aa3b, v11, -v15
	s_delay_alu instid0(VALU_DEP_2) | instskip(SKIP_1) | instid1(VALU_DEP_1)
	v_sub_f32_e32 v15, v15, v21
	v_sub_f32_e32 v13, v13, v14
	v_dual_sub_f32 v12, v12, v14 :: v_dual_mul_f32 v17, 0x3fb8aa3b, v13
	s_delay_alu instid0(VALU_DEP_1) | instskip(SKIP_1) | instid1(VALU_DEP_3)
	v_mul_f32_e32 v16, 0x3fb8aa3b, v12
	v_fmac_f32_e32 v20, 0x32a5705f, v11
	v_rndne_f32_e32 v25, v17
	v_sub_f32_e32 v10, v10, v14
	v_fma_f32 v24, 0x3fb8aa3b, v13, -v17
	s_delay_alu instid0(VALU_DEP_4) | instskip(SKIP_1) | instid1(VALU_DEP_4)
	v_add_f32_e32 v15, v15, v20
	v_fma_f32 v22, 0x3fb8aa3b, v12, -v16
	v_dual_sub_f32 v17, v17, v25 :: v_dual_mul_f32 v14, 0x3fb8aa3b, v10
	v_rndne_f32_e32 v23, v16
	s_delay_alu instid0(VALU_DEP_4)
	v_exp_f32_e32 v15, v15
	v_cmp_ngt_f32_e32 vcc_lo, 0xc2ce8ed0, v10
	v_fmac_f32_e32 v22, 0x32a5705f, v12
	v_fma_f32 v18, 0x3fb8aa3b, v10, -v14
	v_rndne_f32_e32 v19, v14
	v_sub_f32_e32 v16, v16, v23
	v_cvt_i32_f32_e32 v20, v23
	s_delay_alu instid0(VALU_DEP_4) | instskip(NEXT) | instid1(VALU_DEP_4)
	v_fmac_f32_e32 v18, 0x32a5705f, v10
	v_sub_f32_e32 v14, v14, v19
	v_fmac_f32_e32 v24, 0x32a5705f, v13
	s_delay_alu instid0(VALU_DEP_2) | instskip(SKIP_2) | instid1(VALU_DEP_4)
	v_add_f32_e32 v14, v14, v18
	v_cvt_i32_f32_e32 v18, v19
	v_cvt_i32_f32_e32 v19, v21
	v_add_f32_e32 v17, v17, v24
	v_cvt_i32_f32_e32 v21, v25
	v_exp_f32_e32 v14, v14
	s_delay_alu instid0(VALU_DEP_3) | instskip(NEXT) | instid1(VALU_DEP_3)
	v_ldexp_f32 v15, v15, v19
	v_exp_f32_e32 v17, v17
	s_waitcnt_depctr 0xfff
	v_ldexp_f32 v14, v14, v18
	v_ldexp_f32 v17, v17, v21
	s_delay_alu instid0(VALU_DEP_2) | instskip(SKIP_3) | instid1(VALU_DEP_2)
	v_cndmask_b32_e32 v14, 0, v14, vcc_lo
	v_cmp_ngt_f32_e32 vcc_lo, 0xc2ce8ed0, v11
	v_dual_cndmask_b32 v15, 0, v15 :: v_dual_add_f32 v16, v16, v22
	v_cmp_ngt_f32_e32 vcc_lo, 0xc2ce8ed0, v12
	v_exp_f32_e32 v16, v16
	s_waitcnt_depctr 0xfff
	v_ldexp_f32 v16, v16, v20
	s_delay_alu instid0(VALU_DEP_1)
	v_cndmask_b32_e32 v16, 0, v16, vcc_lo
	v_cmp_nlt_f32_e32 vcc_lo, 0x42b17218, v10
	v_cndmask_b32_e32 v10, 0x7f800000, v14, vcc_lo
	v_cmp_nlt_f32_e32 vcc_lo, 0x42b17218, v11
	v_cndmask_b32_e32 v11, 0x7f800000, v15, vcc_lo
	v_cmp_ngt_f32_e32 vcc_lo, 0xc2ce8ed0, v13
	s_delay_alu instid0(VALU_DEP_2) | instskip(SKIP_3) | instid1(VALU_DEP_2)
	v_dual_add_f32 v15, v10, v11 :: v_dual_cndmask_b32 v14, 0, v17
	v_cmp_nlt_f32_e32 vcc_lo, 0x42b17218, v12
	v_cndmask_b32_e32 v12, 0x7f800000, v16, vcc_lo
	v_cmp_nlt_f32_e32 vcc_lo, 0x42b17218, v13
	v_dual_cndmask_b32 v13, 0x7f800000, v14 :: v_dual_add_f32 v14, v15, v12
	s_delay_alu instid0(VALU_DEP_1)
	v_add_f32_e32 v14, v14, v13
	ds_bpermute_b32 v15, v3, v14
	s_waitcnt lgkmcnt(0)
	v_add_f32_e32 v14, v14, v15
	ds_bpermute_b32 v15, v4, v14
	s_waitcnt lgkmcnt(0)
	;; [unrolled: 3-line block ×5, first 2 shown]
	v_add_f32_e32 v14, v14, v15
	s_delay_alu instid0(VALU_DEP_1) | instskip(SKIP_1) | instid1(VALU_DEP_2)
	v_div_scale_f32 v15, null, v14, v14, 1.0
	v_div_scale_f32 v18, vcc_lo, 1.0, v14, 1.0
	v_rcp_f32_e32 v16, v15
	s_waitcnt_depctr 0xfff
	v_fma_f32 v17, -v15, v16, 1.0
	s_delay_alu instid0(VALU_DEP_1) | instskip(NEXT) | instid1(VALU_DEP_1)
	v_fmac_f32_e32 v16, v17, v16
	v_mul_f32_e32 v17, v18, v16
	s_delay_alu instid0(VALU_DEP_1) | instskip(NEXT) | instid1(VALU_DEP_1)
	v_fma_f32 v19, -v15, v17, v18
	v_fmac_f32_e32 v17, v19, v16
	s_delay_alu instid0(VALU_DEP_1) | instskip(NEXT) | instid1(VALU_DEP_1)
	v_fma_f32 v15, -v15, v17, v18
	v_div_fmas_f32 v15, v15, v16, v17
	s_delay_alu instid0(VALU_DEP_1) | instskip(NEXT) | instid1(VALU_DEP_1)
	v_div_fixup_f32 v14, v15, v14, 1.0
	v_mul_f32_e32 v9, v14, v11
	v_mul_f32_e32 v11, v14, v13
	;; [unrolled: 1-line block ×4, first 2 shown]
	ds_store_b128 v0, v[8:11]
	s_cbranch_scc1 .LBB60_30
; %bb.4:
	s_load_b128 s[8:11], s[2:3], 0x20
	v_mul_lo_u32 v8, v1, s4
	v_dual_mov_b32 v10, 0xc61c4000 :: v_dual_lshlrev_b32 v9, 2, v2
	v_cmp_eq_u32_e32 vcc_lo, 0, v2
	s_branch .LBB60_6
.LBB60_5:                               ;   in Loop: Header=BB60_6 Depth=1
	s_or_b32 exec_lo, exec_lo, s0
	v_add_nc_u32_e32 v1, s14, v1
	s_cmp_lg_u32 s4, s7
	s_cbranch_scc0 .LBB60_30
.LBB60_6:                               ; =>This Inner Loop Header: Depth=1
	ds_load_b128 v[11:14], v0
	s_mov_b32 s3, exec_lo
	s_waitcnt lgkmcnt(0)
	v_cmp_gt_f32_e64 s0, v12, v11
	s_delay_alu instid0(VALU_DEP_1) | instskip(SKIP_1) | instid1(VALU_DEP_2)
	v_cndmask_b32_e64 v11, v11, v12, s0
	v_cndmask_b32_e64 v12, 0, 1, s0
	v_cmp_gt_f32_e64 s0, v13, v11
	s_delay_alu instid0(VALU_DEP_1) | instskip(NEXT) | instid1(VALU_DEP_3)
	v_cndmask_b32_e64 v11, v11, v13, s0
	v_cndmask_b32_e64 v13, v12, 2, s0
	s_delay_alu instid0(VALU_DEP_2) | instskip(NEXT) | instid1(VALU_DEP_1)
	v_cmp_gt_f32_e64 s0, v14, v11
	v_cndmask_b32_e64 v12, v11, v14, s0
	s_delay_alu instid0(VALU_DEP_3)
	v_cndmask_b32_e64 v11, v13, 3, s0
	ds_bpermute_b32 v13, v3, v12
	v_or_b32_e32 v11, v9, v11
	ds_bpermute_b32 v14, v3, v11
	s_waitcnt lgkmcnt(1)
	v_cmp_lt_f32_e64 s2, v12, v13
	v_cmpx_nlt_f32_e32 v12, v13
	s_cbranch_execz .LBB60_8
; %bb.7:                                ;   in Loop: Header=BB60_6 Depth=1
	v_cmp_eq_f32_e64 s0, v12, v13
	s_waitcnt lgkmcnt(0)
	v_cmp_lt_i32_e64 s1, v14, v11
	s_delay_alu instid0(VALU_DEP_1) | instskip(SKIP_2) | instid1(SALU_CYCLE_1)
	s_and_b32 s0, s0, s1
	s_and_not1_b32 s1, s2, exec_lo
	s_and_b32 s0, s0, exec_lo
	s_or_b32 s2, s1, s0
.LBB60_8:                               ;   in Loop: Header=BB60_6 Depth=1
	s_or_b32 exec_lo, exec_lo, s3
	s_delay_alu instid0(VALU_DEP_2)
	s_and_saveexec_b32 s0, s2
	s_cbranch_execz .LBB60_10
; %bb.9:                                ;   in Loop: Header=BB60_6 Depth=1
	s_waitcnt lgkmcnt(0)
	v_dual_mov_b32 v12, v13 :: v_dual_mov_b32 v11, v14
.LBB60_10:                              ;   in Loop: Header=BB60_6 Depth=1
	s_or_b32 exec_lo, exec_lo, s0
	s_waitcnt lgkmcnt(0)
	ds_bpermute_b32 v14, v4, v12
	ds_bpermute_b32 v13, v4, v11
	s_mov_b32 s3, exec_lo
	s_waitcnt lgkmcnt(1)
	v_cmp_lt_f32_e64 s2, v12, v14
	v_cmpx_nlt_f32_e32 v12, v14
	s_cbranch_execz .LBB60_12
; %bb.11:                               ;   in Loop: Header=BB60_6 Depth=1
	v_cmp_eq_f32_e64 s0, v12, v14
	s_waitcnt lgkmcnt(0)
	v_cmp_lt_i32_e64 s1, v13, v11
	s_delay_alu instid0(VALU_DEP_1) | instskip(SKIP_2) | instid1(SALU_CYCLE_1)
	s_and_b32 s0, s0, s1
	s_and_not1_b32 s1, s2, exec_lo
	s_and_b32 s0, s0, exec_lo
	s_or_b32 s2, s1, s0
.LBB60_12:                              ;   in Loop: Header=BB60_6 Depth=1
	s_or_b32 exec_lo, exec_lo, s3
	s_delay_alu instid0(VALU_DEP_2)
	s_and_saveexec_b32 s0, s2
	s_cbranch_execz .LBB60_14
; %bb.13:                               ;   in Loop: Header=BB60_6 Depth=1
	s_waitcnt lgkmcnt(0)
	v_dual_mov_b32 v12, v14 :: v_dual_mov_b32 v11, v13
.LBB60_14:                              ;   in Loop: Header=BB60_6 Depth=1
	s_or_b32 exec_lo, exec_lo, s0
	ds_bpermute_b32 v14, v5, v12
	s_waitcnt lgkmcnt(1)
	ds_bpermute_b32 v13, v5, v11
	s_mov_b32 s3, exec_lo
	s_waitcnt lgkmcnt(1)
	v_cmp_lt_f32_e64 s2, v12, v14
	v_cmpx_nlt_f32_e32 v12, v14
	s_cbranch_execz .LBB60_16
; %bb.15:                               ;   in Loop: Header=BB60_6 Depth=1
	v_cmp_eq_f32_e64 s0, v12, v14
	s_waitcnt lgkmcnt(0)
	v_cmp_lt_i32_e64 s1, v13, v11
	s_delay_alu instid0(VALU_DEP_1) | instskip(SKIP_2) | instid1(SALU_CYCLE_1)
	s_and_b32 s0, s0, s1
	s_and_not1_b32 s1, s2, exec_lo
	s_and_b32 s0, s0, exec_lo
	s_or_b32 s2, s1, s0
.LBB60_16:                              ;   in Loop: Header=BB60_6 Depth=1
	s_or_b32 exec_lo, exec_lo, s3
	s_delay_alu instid0(VALU_DEP_2)
	s_and_saveexec_b32 s0, s2
	s_cbranch_execz .LBB60_18
; %bb.17:                               ;   in Loop: Header=BB60_6 Depth=1
	s_waitcnt lgkmcnt(0)
	v_dual_mov_b32 v12, v14 :: v_dual_mov_b32 v11, v13
.LBB60_18:                              ;   in Loop: Header=BB60_6 Depth=1
	s_or_b32 exec_lo, exec_lo, s0
	ds_bpermute_b32 v14, v6, v12
	s_waitcnt lgkmcnt(1)
	ds_bpermute_b32 v13, v6, v11
	s_mov_b32 s3, exec_lo
	s_waitcnt lgkmcnt(1)
	v_cmp_lt_f32_e64 s2, v12, v14
	v_cmpx_nlt_f32_e32 v12, v14
	s_cbranch_execz .LBB60_20
; %bb.19:                               ;   in Loop: Header=BB60_6 Depth=1
	v_cmp_eq_f32_e64 s0, v12, v14
	s_waitcnt lgkmcnt(0)
	v_cmp_lt_i32_e64 s1, v13, v11
	s_delay_alu instid0(VALU_DEP_1) | instskip(SKIP_2) | instid1(SALU_CYCLE_1)
	s_and_b32 s0, s0, s1
	s_and_not1_b32 s1, s2, exec_lo
	s_and_b32 s0, s0, exec_lo
	s_or_b32 s2, s1, s0
.LBB60_20:                              ;   in Loop: Header=BB60_6 Depth=1
	s_or_b32 exec_lo, exec_lo, s3
	s_delay_alu instid0(VALU_DEP_2)
	s_and_saveexec_b32 s0, s2
	s_cbranch_execz .LBB60_22
; %bb.21:                               ;   in Loop: Header=BB60_6 Depth=1
	s_waitcnt lgkmcnt(0)
	v_dual_mov_b32 v12, v14 :: v_dual_mov_b32 v11, v13
.LBB60_22:                              ;   in Loop: Header=BB60_6 Depth=1
	s_or_b32 exec_lo, exec_lo, s0
	s_waitcnt lgkmcnt(0)
	ds_bpermute_b32 v13, v7, v12
	ds_bpermute_b32 v14, v7, v11
	s_mov_b32 s3, exec_lo
	s_waitcnt lgkmcnt(1)
	v_cmp_lt_f32_e64 s2, v12, v13
	v_cmpx_nlt_f32_e32 v12, v13
	s_cbranch_execnz .LBB60_28
; %bb.23:                               ;   in Loop: Header=BB60_6 Depth=1
	s_or_b32 exec_lo, exec_lo, s3
	s_delay_alu instid0(VALU_DEP_2)
	s_and_saveexec_b32 s0, s2
	s_cbranch_execnz .LBB60_29
.LBB60_24:                              ;   in Loop: Header=BB60_6 Depth=1
	s_or_b32 exec_lo, exec_lo, s0
	s_and_saveexec_b32 s2, vcc_lo
	s_cbranch_execz .LBB60_26
.LBB60_25:                              ;   in Loop: Header=BB60_6 Depth=1
	v_add_nc_u32_e32 v13, s7, v8
	v_subrev_nc_u32_e32 v17, s5, v11
	v_cmp_le_i32_e64 s0, s5, v11
	v_cmp_gt_i32_e64 s1, s6, v11
	s_waitcnt lgkmcnt(0)
	v_ashrrev_i32_e32 v14, 31, v13
	v_ashrrev_i32_e32 v18, 31, v17
	s_delay_alu instid0(VALU_DEP_3) | instskip(NEXT) | instid1(SALU_CYCLE_1)
	s_and_b32 s0, s0, s1
	s_and_b32 s0, s15, s0
	s_delay_alu instid0(VALU_DEP_2) | instskip(SKIP_3) | instid1(VALU_DEP_4)
	v_lshlrev_b64 v[15:16], 2, v[13:14]
	v_lshlrev_b64 v[13:14], 3, v[13:14]
	v_cndmask_b32_e64 v18, 0, v18, s0
	v_cndmask_b32_e64 v17, 0x80, v17, s0
	v_add_co_u32 v19, s0, s12, v15
	s_delay_alu instid0(VALU_DEP_1) | instskip(SKIP_1) | instid1(VALU_DEP_1)
	v_add_co_ci_u32_e64 v20, s0, s13, v16, s0
	v_add_co_u32 v13, s0, s8, v13
	v_add_co_ci_u32_e64 v14, s0, s9, v14, s0
	v_add_co_u32 v15, s0, s10, v15
	s_delay_alu instid0(VALU_DEP_1)
	v_add_co_ci_u32_e64 v16, s0, s11, v16, s0
	global_store_b32 v[19:20], v12, off
	global_store_b64 v[13:14], v[17:18], off
	global_store_b32 v[15:16], v1, off
.LBB60_26:                              ;   in Loop: Header=BB60_6 Depth=1
	s_or_b32 exec_lo, exec_lo, s2
	v_ashrrev_i32_e32 v12, 31, v11
	s_add_i32 s7, s7, 1
	s_delay_alu instid0(SALU_CYCLE_1) | instskip(SKIP_1) | instid1(VALU_DEP_1)
	s_cmp_lt_i32 s7, s4
	s_cselect_b32 s1, -1, 0
	v_lshrrev_b32_e32 v13, 30, v12
	s_delay_alu instid0(VALU_DEP_1) | instskip(SKIP_1) | instid1(VALU_DEP_1)
	v_add_nc_u32_e32 v13, v11, v13
	s_waitcnt lgkmcnt(0)
	v_ashrrev_i32_e32 v14, 31, v13
	v_ashrrev_i32_e32 v13, 2, v13
	s_delay_alu instid0(VALU_DEP_2) | instskip(NEXT) | instid1(VALU_DEP_1)
	v_lshrrev_b32_e32 v14, 27, v14
	v_add_nc_u32_e32 v14, v13, v14
	s_delay_alu instid0(VALU_DEP_1) | instskip(NEXT) | instid1(VALU_DEP_1)
	v_and_b32_e32 v14, 0xffffffe0, v14
	v_sub_nc_u32_e32 v14, v13, v14
	s_delay_alu instid0(VALU_DEP_1) | instskip(NEXT) | instid1(VALU_DEP_1)
	v_cmp_eq_u32_e64 s0, v2, v14
	s_and_b32 s1, s1, s0
	s_delay_alu instid0(SALU_CYCLE_1)
	s_and_saveexec_b32 s0, s1
	s_cbranch_execz .LBB60_5
; %bb.27:                               ;   in Loop: Header=BB60_6 Depth=1
	v_lshrrev_b32_e32 v12, 25, v12
	v_lshlrev_b32_e32 v13, 2, v13
	s_delay_alu instid0(VALU_DEP_2) | instskip(NEXT) | instid1(VALU_DEP_2)
	v_add_nc_u32_e32 v12, v11, v12
	v_sub_nc_u32_e32 v11, v11, v13
	s_delay_alu instid0(VALU_DEP_2) | instskip(NEXT) | instid1(VALU_DEP_1)
	v_ashrrev_i32_e32 v12, 7, v12
	v_lshl_add_u32 v11, v12, 2, v11
	s_delay_alu instid0(VALU_DEP_1)
	v_lshl_add_u32 v11, v11, 2, v0
	ds_store_b32 v11, v10
	s_branch .LBB60_5
.LBB60_28:                              ;   in Loop: Header=BB60_6 Depth=1
	v_cmp_eq_f32_e64 s0, v12, v13
	s_waitcnt lgkmcnt(0)
	v_cmp_lt_i32_e64 s1, v14, v11
	s_delay_alu instid0(VALU_DEP_1) | instskip(SKIP_2) | instid1(SALU_CYCLE_1)
	s_and_b32 s0, s0, s1
	s_and_not1_b32 s1, s2, exec_lo
	s_and_b32 s0, s0, exec_lo
	s_or_b32 s2, s1, s0
	s_or_b32 exec_lo, exec_lo, s3
	s_and_saveexec_b32 s0, s2
	s_cbranch_execz .LBB60_24
.LBB60_29:                              ;   in Loop: Header=BB60_6 Depth=1
	s_waitcnt lgkmcnt(0)
	v_dual_mov_b32 v12, v13 :: v_dual_mov_b32 v11, v14
	s_or_b32 exec_lo, exec_lo, s0
	s_and_saveexec_b32 s2, vcc_lo
	s_cbranch_execnz .LBB60_25
	s_branch .LBB60_26
.LBB60_30:
	s_nop 0
	s_sendmsg sendmsg(MSG_DEALLOC_VGPRS)
	s_endpgm
	.section	.rodata,"a",@progbits
	.p2align	6, 0x0
	.amdhsa_kernel _ZN4vllm3moe17topkGatingSoftmaxILi4ELi128ELi4ELi16ELi32ElEEvPKfPKbPfiPT4_Piiii
		.amdhsa_group_segment_fixed_size 2048
		.amdhsa_private_segment_fixed_size 0
		.amdhsa_kernarg_size 60
		.amdhsa_user_sgpr_count 15
		.amdhsa_user_sgpr_dispatch_ptr 1
		.amdhsa_user_sgpr_queue_ptr 0
		.amdhsa_user_sgpr_kernarg_segment_ptr 1
		.amdhsa_user_sgpr_dispatch_id 0
		.amdhsa_user_sgpr_private_segment_size 0
		.amdhsa_wavefront_size32 1
		.amdhsa_uses_dynamic_stack 0
		.amdhsa_enable_private_segment 0
		.amdhsa_system_sgpr_workgroup_id_x 1
		.amdhsa_system_sgpr_workgroup_id_y 0
		.amdhsa_system_sgpr_workgroup_id_z 0
		.amdhsa_system_sgpr_workgroup_info 0
		.amdhsa_system_vgpr_workitem_id 2
		.amdhsa_next_free_vgpr 26
		.amdhsa_next_free_sgpr 16
		.amdhsa_reserve_vcc 1
		.amdhsa_float_round_mode_32 0
		.amdhsa_float_round_mode_16_64 0
		.amdhsa_float_denorm_mode_32 3
		.amdhsa_float_denorm_mode_16_64 3
		.amdhsa_dx10_clamp 1
		.amdhsa_ieee_mode 1
		.amdhsa_fp16_overflow 0
		.amdhsa_workgroup_processor_mode 1
		.amdhsa_memory_ordered 1
		.amdhsa_forward_progress 0
		.amdhsa_shared_vgpr_count 0
		.amdhsa_exception_fp_ieee_invalid_op 0
		.amdhsa_exception_fp_denorm_src 0
		.amdhsa_exception_fp_ieee_div_zero 0
		.amdhsa_exception_fp_ieee_overflow 0
		.amdhsa_exception_fp_ieee_underflow 0
		.amdhsa_exception_fp_ieee_inexact 0
		.amdhsa_exception_int_div_zero 0
	.end_amdhsa_kernel
	.section	.text._ZN4vllm3moe17topkGatingSoftmaxILi4ELi128ELi4ELi16ELi32ElEEvPKfPKbPfiPT4_Piiii,"axG",@progbits,_ZN4vllm3moe17topkGatingSoftmaxILi4ELi128ELi4ELi16ELi32ElEEvPKfPKbPfiPT4_Piiii,comdat
.Lfunc_end60:
	.size	_ZN4vllm3moe17topkGatingSoftmaxILi4ELi128ELi4ELi16ELi32ElEEvPKfPKbPfiPT4_Piiii, .Lfunc_end60-_ZN4vllm3moe17topkGatingSoftmaxILi4ELi128ELi4ELi16ELi32ElEEvPKfPKbPfiPT4_Piiii
                                        ; -- End function
	.section	.AMDGPU.csdata,"",@progbits
; Kernel info:
; codeLenInByte = 2268
; NumSgprs: 18
; NumVgprs: 26
; ScratchSize: 0
; MemoryBound: 0
; FloatMode: 240
; IeeeMode: 1
; LDSByteSize: 2048 bytes/workgroup (compile time only)
; SGPRBlocks: 2
; VGPRBlocks: 3
; NumSGPRsForWavesPerEU: 18
; NumVGPRsForWavesPerEU: 26
; Occupancy: 16
; WaveLimiterHint : 0
; COMPUTE_PGM_RSRC2:SCRATCH_EN: 0
; COMPUTE_PGM_RSRC2:USER_SGPR: 15
; COMPUTE_PGM_RSRC2:TRAP_HANDLER: 0
; COMPUTE_PGM_RSRC2:TGID_X_EN: 1
; COMPUTE_PGM_RSRC2:TGID_Y_EN: 0
; COMPUTE_PGM_RSRC2:TGID_Z_EN: 0
; COMPUTE_PGM_RSRC2:TIDIG_COMP_CNT: 2
	.section	.text._ZN4vllm3moe17topkGatingSoftmaxILi4ELi256ELi4ELi16ELi64ElEEvPKfPKbPfiPT4_Piiii,"axG",@progbits,_ZN4vllm3moe17topkGatingSoftmaxILi4ELi256ELi4ELi16ELi64ElEEvPKfPKbPfiPT4_Piiii,comdat
	.protected	_ZN4vllm3moe17topkGatingSoftmaxILi4ELi256ELi4ELi16ELi64ElEEvPKfPKbPfiPT4_Piiii ; -- Begin function _ZN4vllm3moe17topkGatingSoftmaxILi4ELi256ELi4ELi16ELi64ElEEvPKfPKbPfiPT4_Piiii
	.globl	_ZN4vllm3moe17topkGatingSoftmaxILi4ELi256ELi4ELi16ELi64ElEEvPKfPKbPfiPT4_Piiii
	.p2align	8
	.type	_ZN4vllm3moe17topkGatingSoftmaxILi4ELi256ELi4ELi16ELi64ElEEvPKfPKbPfiPT4_Piiii,@function
_ZN4vllm3moe17topkGatingSoftmaxILi4ELi256ELi4ELi16ELi64ElEEvPKfPKbPfiPT4_Piiii: ; @_ZN4vllm3moe17topkGatingSoftmaxILi4ELi256ELi4ELi16ELi64ElEEvPKfPKbPfiPT4_Piiii
; %bb.0:
	s_load_b32 s14, s[2:3], 0x18
	v_and_b32_e32 v10, 0x3ff, v0
	v_bfe_u32 v9, v0, 10, 10
	s_lshl_b32 s4, s15, 2
	s_delay_alu instid0(VALU_DEP_2) | instskip(NEXT) | instid1(VALU_DEP_1)
	v_lshrrev_b32_e32 v1, 6, v10
	v_add3_u32 v1, s4, v9, v1
	s_mov_b32 s4, exec_lo
	s_waitcnt lgkmcnt(0)
	s_delay_alu instid0(VALU_DEP_1)
	v_cmpx_gt_i32_e64 s14, v1
	s_cbranch_execz .LBB61_34
; %bb.1:
	s_clause 0x1
	s_load_b128 s[4:7], s[2:3], 0x0
	s_load_b64 s[12:13], s[2:3], 0x10
	s_mov_b32 s15, -1
	s_waitcnt lgkmcnt(0)
	s_cmp_eq_u64 s[6:7], 0
	s_cbranch_scc1 .LBB61_3
; %bb.2:
	v_ashrrev_i32_e32 v3, 31, v1
	v_add_co_u32 v2, vcc_lo, s6, v1
	s_delay_alu instid0(VALU_DEP_2) | instskip(SKIP_3) | instid1(VALU_DEP_1)
	v_add_co_ci_u32_e32 v3, vcc_lo, s7, v3, vcc_lo
	global_load_u8 v2, v[2:3], off
	s_waitcnt vmcnt(0)
	v_and_b32_e32 v2, 1, v2
	v_cmp_eq_u32_e32 vcc_lo, 1, v2
	s_xor_b32 s6, vcc_lo, -1
	s_delay_alu instid0(SALU_CYCLE_1)
	s_or_not1_b32 s15, s6, exec_lo
.LBB61_3:
	v_lshlrev_b32_e32 v3, 8, v1
	v_and_b32_e32 v2, 63, v10
	v_mbcnt_lo_u32_b32 v8, -1, 0
	s_load_b64 s[0:1], s[0:1], 0x4
	v_bfe_u32 v0, v0, 20, 10
	v_ashrrev_i32_e32 v4, 31, v3
	v_lshlrev_b32_e32 v5, 4, v2
	v_xor_b32_e32 v6, 16, v8
	s_delay_alu instid0(VALU_DEP_3) | instskip(NEXT) | instid1(VALU_DEP_1)
	v_lshlrev_b64 v[3:4], 2, v[3:4]
	v_add_co_u32 v3, vcc_lo, s4, v3
	s_delay_alu instid0(VALU_DEP_2) | instskip(SKIP_1) | instid1(VALU_DEP_2)
	v_add_co_ci_u32_e32 v4, vcc_lo, s5, v4, vcc_lo
	s_load_b128 s[4:7], s[2:3], 0x30
	v_add_co_u32 v3, vcc_lo, v3, v5
	s_delay_alu instid0(VALU_DEP_2)
	v_add_co_ci_u32_e32 v4, vcc_lo, 0, v4, vcc_lo
	s_waitcnt lgkmcnt(0)
	s_lshr_b32 s0, s0, 16
	s_mov_b32 s7, 0
	s_mul_i32 s0, s0, s1
	global_load_b128 v[11:14], v[3:4], off
	v_or_b32_e32 v3, 32, v8
	v_mul_lo_u32 v10, s0, v10
	s_delay_alu instid0(VALU_DEP_2) | instskip(NEXT) | instid1(VALU_DEP_2)
	v_cmp_gt_i32_e32 vcc_lo, 64, v3
	v_mad_u32_u24 v9, v9, s1, v10
	s_cmp_lt_i32 s4, 1
	s_delay_alu instid0(VALU_DEP_1) | instskip(SKIP_4) | instid1(VALU_DEP_2)
	v_add_lshl_u32 v0, v9, v0, 4
	s_waitcnt vmcnt(0)
	v_dual_max_f32 v4, v12, v12 :: v_dual_max_f32 v5, v11, v11
	v_cndmask_b32_e32 v3, v8, v3, vcc_lo
	v_cmp_gt_i32_e32 vcc_lo, 64, v6
	v_dual_max_f32 v4, v5, v4 :: v_dual_lshlrev_b32 v3, 2, v3
	v_cndmask_b32_e32 v6, v8, v6, vcc_lo
	s_delay_alu instid0(VALU_DEP_2) | instskip(SKIP_3) | instid1(VALU_DEP_1)
	v_max3_f32 v5, v4, v13, v14
	ds_bpermute_b32 v4, v3, v5
	s_waitcnt lgkmcnt(0)
	v_dual_max_f32 v7, v4, v4 :: v_dual_lshlrev_b32 v4, 2, v6
	v_max_f32_e32 v6, v5, v7
	v_xor_b32_e32 v7, 8, v8
	ds_bpermute_b32 v5, v4, v6
	v_cmp_gt_i32_e32 vcc_lo, 64, v7
	v_cndmask_b32_e32 v7, v8, v7, vcc_lo
	s_waitcnt lgkmcnt(0)
	v_max_f32_e32 v15, v5, v5
	s_delay_alu instid0(VALU_DEP_2) | instskip(NEXT) | instid1(VALU_DEP_2)
	v_lshlrev_b32_e32 v5, 2, v7
	v_max_f32_e32 v7, v6, v15
	v_xor_b32_e32 v15, 4, v8
	ds_bpermute_b32 v6, v5, v7
	v_cmp_gt_i32_e32 vcc_lo, 64, v15
	s_waitcnt lgkmcnt(0)
	v_dual_cndmask_b32 v15, v8, v15 :: v_dual_max_f32 v16, v6, v6
	s_delay_alu instid0(VALU_DEP_1)
	v_dual_max_f32 v15, v7, v16 :: v_dual_lshlrev_b32 v6, 2, v15
	v_xor_b32_e32 v16, 2, v8
	ds_bpermute_b32 v7, v6, v15
	v_cmp_gt_i32_e32 vcc_lo, 64, v16
	s_waitcnt lgkmcnt(0)
	v_dual_cndmask_b32 v16, v8, v16 :: v_dual_max_f32 v17, v7, v7
	s_delay_alu instid0(VALU_DEP_1) | instskip(NEXT) | instid1(VALU_DEP_2)
	v_lshlrev_b32_e32 v7, 2, v16
	v_max_f32_e32 v15, v15, v17
	v_xor_b32_e32 v17, 1, v8
	ds_bpermute_b32 v16, v7, v15
	v_cmp_gt_i32_e32 vcc_lo, 64, v17
	v_cndmask_b32_e32 v8, v8, v17, vcc_lo
	s_delay_alu instid0(VALU_DEP_1) | instskip(SKIP_2) | instid1(VALU_DEP_1)
	v_lshlrev_b32_e32 v8, 2, v8
	s_waitcnt lgkmcnt(0)
	v_max_f32_e32 v16, v16, v16
	v_max_f32_e32 v15, v15, v16
	ds_bpermute_b32 v16, v8, v15
	s_waitcnt lgkmcnt(0)
	v_max_f32_e32 v16, v16, v16
	s_delay_alu instid0(VALU_DEP_1) | instskip(NEXT) | instid1(VALU_DEP_1)
	v_max_f32_e32 v15, v15, v16
	v_sub_f32_e32 v12, v12, v15
	s_delay_alu instid0(VALU_DEP_1) | instskip(NEXT) | instid1(VALU_DEP_1)
	v_mul_f32_e32 v16, 0x3fb8aa3b, v12
	v_fma_f32 v21, 0x3fb8aa3b, v12, -v16
	v_rndne_f32_e32 v22, v16
	s_delay_alu instid0(VALU_DEP_1) | instskip(NEXT) | instid1(VALU_DEP_1)
	v_dual_fmac_f32 v21, 0x32a5705f, v12 :: v_dual_sub_f32 v16, v16, v22
	v_dual_sub_f32 v13, v13, v15 :: v_dual_add_f32 v16, v16, v21
	s_delay_alu instid0(VALU_DEP_1) | instskip(NEXT) | instid1(VALU_DEP_2)
	v_dual_sub_f32 v14, v14, v15 :: v_dual_mul_f32 v17, 0x3fb8aa3b, v13
	v_exp_f32_e32 v16, v16
	s_delay_alu instid0(VALU_DEP_1) | instskip(NEXT) | instid1(VALU_DEP_2)
	v_mul_f32_e32 v18, 0x3fb8aa3b, v14
	v_fma_f32 v23, 0x3fb8aa3b, v13, -v17
	v_rndne_f32_e32 v24, v17
	s_delay_alu instid0(VALU_DEP_3)
	v_fma_f32 v25, 0x3fb8aa3b, v14, -v18
	v_rndne_f32_e32 v26, v18
	v_sub_f32_e32 v11, v11, v15
	v_fmac_f32_e32 v23, 0x32a5705f, v13
	v_sub_f32_e32 v17, v17, v24
	v_fmac_f32_e32 v25, 0x32a5705f, v14
	s_delay_alu instid0(VALU_DEP_4) | instskip(SKIP_1) | instid1(VALU_DEP_4)
	v_dual_sub_f32 v18, v18, v26 :: v_dual_mul_f32 v15, 0x3fb8aa3b, v11
	v_cmp_ngt_f32_e32 vcc_lo, 0xc2ce8ed0, v11
	v_add_f32_e32 v17, v17, v23
	v_cvt_i32_f32_e32 v21, v24
	s_delay_alu instid0(VALU_DEP_4) | instskip(SKIP_3) | instid1(VALU_DEP_3)
	v_add_f32_e32 v18, v18, v25
	v_fma_f32 v19, 0x3fb8aa3b, v11, -v15
	v_rndne_f32_e32 v20, v15
	v_exp_f32_e32 v17, v17
	v_exp_f32_e32 v18, v18
	s_delay_alu instid0(VALU_DEP_2) | instskip(NEXT) | instid1(VALU_DEP_2)
	v_fmac_f32_e32 v19, 0x32a5705f, v11
	v_sub_f32_e32 v15, v15, v20
	s_delay_alu instid0(VALU_DEP_1) | instskip(SKIP_2) | instid1(TRANS32_DEP_2)
	v_add_f32_e32 v15, v15, v19
	v_cvt_i32_f32_e32 v19, v20
	v_cvt_i32_f32_e32 v20, v22
	v_ldexp_f32 v17, v17, v21
	v_cvt_i32_f32_e32 v22, v26
	v_exp_f32_e32 v15, v15
	s_delay_alu instid0(VALU_DEP_3) | instskip(NEXT) | instid1(VALU_DEP_2)
	v_ldexp_f32 v16, v16, v20
	v_ldexp_f32 v18, v18, v22
	s_waitcnt_depctr 0xfff
	v_ldexp_f32 v15, v15, v19
	s_delay_alu instid0(VALU_DEP_1)
	v_cndmask_b32_e32 v15, 0, v15, vcc_lo
	v_cmp_ngt_f32_e32 vcc_lo, 0xc2ce8ed0, v12
	v_cndmask_b32_e32 v16, 0, v16, vcc_lo
	v_cmp_ngt_f32_e32 vcc_lo, 0xc2ce8ed0, v13
	v_cndmask_b32_e32 v17, 0, v17, vcc_lo
	v_cmp_nlt_f32_e32 vcc_lo, 0x42b17218, v11
	v_cndmask_b32_e32 v11, 0x7f800000, v15, vcc_lo
	v_cmp_nlt_f32_e32 vcc_lo, 0x42b17218, v12
	v_cndmask_b32_e32 v12, 0x7f800000, v16, vcc_lo
	v_cmp_ngt_f32_e32 vcc_lo, 0xc2ce8ed0, v14
	s_delay_alu instid0(VALU_DEP_2) | instskip(SKIP_3) | instid1(VALU_DEP_2)
	v_dual_add_f32 v16, v11, v12 :: v_dual_cndmask_b32 v15, 0, v18
	v_cmp_nlt_f32_e32 vcc_lo, 0x42b17218, v13
	v_cndmask_b32_e32 v13, 0x7f800000, v17, vcc_lo
	v_cmp_nlt_f32_e32 vcc_lo, 0x42b17218, v14
	v_dual_cndmask_b32 v14, 0x7f800000, v15 :: v_dual_add_f32 v15, v16, v13
	s_delay_alu instid0(VALU_DEP_1)
	v_add_f32_e32 v15, v15, v14
	ds_bpermute_b32 v16, v3, v15
	s_waitcnt lgkmcnt(0)
	v_add_f32_e32 v15, v15, v16
	ds_bpermute_b32 v16, v4, v15
	s_waitcnt lgkmcnt(0)
	;; [unrolled: 3-line block ×6, first 2 shown]
	v_add_f32_e32 v15, v15, v16
	s_delay_alu instid0(VALU_DEP_1) | instskip(SKIP_1) | instid1(VALU_DEP_2)
	v_div_scale_f32 v16, null, v15, v15, 1.0
	v_div_scale_f32 v19, vcc_lo, 1.0, v15, 1.0
	v_rcp_f32_e32 v17, v16
	s_waitcnt_depctr 0xfff
	v_fma_f32 v18, -v16, v17, 1.0
	s_delay_alu instid0(VALU_DEP_1) | instskip(NEXT) | instid1(VALU_DEP_1)
	v_fmac_f32_e32 v17, v18, v17
	v_mul_f32_e32 v18, v19, v17
	s_delay_alu instid0(VALU_DEP_1) | instskip(NEXT) | instid1(VALU_DEP_1)
	v_fma_f32 v20, -v16, v18, v19
	v_fmac_f32_e32 v18, v20, v17
	s_delay_alu instid0(VALU_DEP_1) | instskip(NEXT) | instid1(VALU_DEP_1)
	v_fma_f32 v16, -v16, v18, v19
	v_div_fmas_f32 v16, v16, v17, v18
	s_delay_alu instid0(VALU_DEP_1) | instskip(NEXT) | instid1(VALU_DEP_1)
	v_div_fixup_f32 v15, v16, v15, 1.0
	v_mul_f32_e32 v9, v15, v11
	v_mul_f32_e32 v10, v15, v12
	;; [unrolled: 1-line block ×4, first 2 shown]
	ds_store_b128 v0, v[9:12]
	s_cbranch_scc1 .LBB61_34
; %bb.4:
	s_load_b128 s[8:11], s[2:3], 0x20
	v_mul_lo_u32 v9, v1, s4
	v_dual_mov_b32 v11, 0xc61c4000 :: v_dual_lshlrev_b32 v10, 2, v2
	v_cmp_eq_u32_e32 vcc_lo, 0, v2
	s_branch .LBB61_6
.LBB61_5:                               ;   in Loop: Header=BB61_6 Depth=1
	s_or_b32 exec_lo, exec_lo, s0
	v_add_nc_u32_e32 v1, s14, v1
	s_cmp_lg_u32 s4, s7
	s_cbranch_scc0 .LBB61_34
.LBB61_6:                               ; =>This Inner Loop Header: Depth=1
	ds_load_b128 v[12:15], v0
	s_mov_b32 s3, exec_lo
	s_waitcnt lgkmcnt(0)
	v_cmp_gt_f32_e64 s0, v13, v12
	s_delay_alu instid0(VALU_DEP_1) | instskip(SKIP_1) | instid1(VALU_DEP_2)
	v_cndmask_b32_e64 v12, v12, v13, s0
	v_cndmask_b32_e64 v13, 0, 1, s0
	v_cmp_gt_f32_e64 s0, v14, v12
	s_delay_alu instid0(VALU_DEP_1) | instskip(NEXT) | instid1(VALU_DEP_3)
	v_cndmask_b32_e64 v12, v12, v14, s0
	v_cndmask_b32_e64 v14, v13, 2, s0
	s_delay_alu instid0(VALU_DEP_2) | instskip(NEXT) | instid1(VALU_DEP_1)
	v_cmp_gt_f32_e64 s0, v15, v12
	v_cndmask_b32_e64 v13, v12, v15, s0
	s_delay_alu instid0(VALU_DEP_3)
	v_cndmask_b32_e64 v12, v14, 3, s0
	ds_bpermute_b32 v14, v3, v13
	v_or_b32_e32 v12, v10, v12
	ds_bpermute_b32 v15, v3, v12
	s_waitcnt lgkmcnt(1)
	v_cmp_lt_f32_e64 s2, v13, v14
	v_cmpx_nlt_f32_e32 v13, v14
	s_cbranch_execz .LBB61_8
; %bb.7:                                ;   in Loop: Header=BB61_6 Depth=1
	v_cmp_eq_f32_e64 s0, v13, v14
	s_waitcnt lgkmcnt(0)
	v_cmp_lt_i32_e64 s1, v15, v12
	s_delay_alu instid0(VALU_DEP_1) | instskip(SKIP_2) | instid1(SALU_CYCLE_1)
	s_and_b32 s0, s0, s1
	s_and_not1_b32 s1, s2, exec_lo
	s_and_b32 s0, s0, exec_lo
	s_or_b32 s2, s1, s0
.LBB61_8:                               ;   in Loop: Header=BB61_6 Depth=1
	s_or_b32 exec_lo, exec_lo, s3
	s_delay_alu instid0(VALU_DEP_2)
	s_and_saveexec_b32 s0, s2
	s_cbranch_execz .LBB61_10
; %bb.9:                                ;   in Loop: Header=BB61_6 Depth=1
	s_waitcnt lgkmcnt(0)
	v_dual_mov_b32 v13, v14 :: v_dual_mov_b32 v12, v15
.LBB61_10:                              ;   in Loop: Header=BB61_6 Depth=1
	s_or_b32 exec_lo, exec_lo, s0
	s_waitcnt lgkmcnt(0)
	ds_bpermute_b32 v15, v4, v13
	ds_bpermute_b32 v14, v4, v12
	s_mov_b32 s3, exec_lo
	s_waitcnt lgkmcnt(1)
	v_cmp_lt_f32_e64 s2, v13, v15
	v_cmpx_nlt_f32_e32 v13, v15
	s_cbranch_execz .LBB61_12
; %bb.11:                               ;   in Loop: Header=BB61_6 Depth=1
	v_cmp_eq_f32_e64 s0, v13, v15
	s_waitcnt lgkmcnt(0)
	v_cmp_lt_i32_e64 s1, v14, v12
	s_delay_alu instid0(VALU_DEP_1) | instskip(SKIP_2) | instid1(SALU_CYCLE_1)
	s_and_b32 s0, s0, s1
	s_and_not1_b32 s1, s2, exec_lo
	s_and_b32 s0, s0, exec_lo
	s_or_b32 s2, s1, s0
.LBB61_12:                              ;   in Loop: Header=BB61_6 Depth=1
	s_or_b32 exec_lo, exec_lo, s3
	s_delay_alu instid0(VALU_DEP_2)
	s_and_saveexec_b32 s0, s2
	s_cbranch_execz .LBB61_14
; %bb.13:                               ;   in Loop: Header=BB61_6 Depth=1
	s_waitcnt lgkmcnt(0)
	v_dual_mov_b32 v13, v15 :: v_dual_mov_b32 v12, v14
.LBB61_14:                              ;   in Loop: Header=BB61_6 Depth=1
	s_or_b32 exec_lo, exec_lo, s0
	ds_bpermute_b32 v15, v5, v13
	s_waitcnt lgkmcnt(1)
	ds_bpermute_b32 v14, v5, v12
	s_mov_b32 s3, exec_lo
	s_waitcnt lgkmcnt(1)
	v_cmp_lt_f32_e64 s2, v13, v15
	v_cmpx_nlt_f32_e32 v13, v15
	s_cbranch_execz .LBB61_16
; %bb.15:                               ;   in Loop: Header=BB61_6 Depth=1
	v_cmp_eq_f32_e64 s0, v13, v15
	s_waitcnt lgkmcnt(0)
	v_cmp_lt_i32_e64 s1, v14, v12
	s_delay_alu instid0(VALU_DEP_1) | instskip(SKIP_2) | instid1(SALU_CYCLE_1)
	s_and_b32 s0, s0, s1
	s_and_not1_b32 s1, s2, exec_lo
	s_and_b32 s0, s0, exec_lo
	s_or_b32 s2, s1, s0
.LBB61_16:                              ;   in Loop: Header=BB61_6 Depth=1
	s_or_b32 exec_lo, exec_lo, s3
	s_delay_alu instid0(VALU_DEP_2)
	s_and_saveexec_b32 s0, s2
	s_cbranch_execz .LBB61_18
; %bb.17:                               ;   in Loop: Header=BB61_6 Depth=1
	s_waitcnt lgkmcnt(0)
	v_dual_mov_b32 v13, v15 :: v_dual_mov_b32 v12, v14
.LBB61_18:                              ;   in Loop: Header=BB61_6 Depth=1
	s_or_b32 exec_lo, exec_lo, s0
	ds_bpermute_b32 v15, v6, v13
	s_waitcnt lgkmcnt(1)
	ds_bpermute_b32 v14, v6, v12
	s_mov_b32 s3, exec_lo
	s_waitcnt lgkmcnt(1)
	v_cmp_lt_f32_e64 s2, v13, v15
	v_cmpx_nlt_f32_e32 v13, v15
	s_cbranch_execz .LBB61_20
; %bb.19:                               ;   in Loop: Header=BB61_6 Depth=1
	v_cmp_eq_f32_e64 s0, v13, v15
	s_waitcnt lgkmcnt(0)
	v_cmp_lt_i32_e64 s1, v14, v12
	s_delay_alu instid0(VALU_DEP_1) | instskip(SKIP_2) | instid1(SALU_CYCLE_1)
	s_and_b32 s0, s0, s1
	s_and_not1_b32 s1, s2, exec_lo
	s_and_b32 s0, s0, exec_lo
	s_or_b32 s2, s1, s0
.LBB61_20:                              ;   in Loop: Header=BB61_6 Depth=1
	s_or_b32 exec_lo, exec_lo, s3
	s_delay_alu instid0(VALU_DEP_2)
	s_and_saveexec_b32 s0, s2
	s_cbranch_execz .LBB61_22
; %bb.21:                               ;   in Loop: Header=BB61_6 Depth=1
	s_waitcnt lgkmcnt(0)
	v_dual_mov_b32 v13, v15 :: v_dual_mov_b32 v12, v14
.LBB61_22:                              ;   in Loop: Header=BB61_6 Depth=1
	s_or_b32 exec_lo, exec_lo, s0
	ds_bpermute_b32 v15, v7, v13
	s_waitcnt lgkmcnt(1)
	ds_bpermute_b32 v14, v7, v12
	s_mov_b32 s3, exec_lo
	s_waitcnt lgkmcnt(1)
	v_cmp_lt_f32_e64 s2, v13, v15
	v_cmpx_nlt_f32_e32 v13, v15
	s_cbranch_execz .LBB61_24
; %bb.23:                               ;   in Loop: Header=BB61_6 Depth=1
	v_cmp_eq_f32_e64 s0, v13, v15
	s_waitcnt lgkmcnt(0)
	v_cmp_lt_i32_e64 s1, v14, v12
	s_delay_alu instid0(VALU_DEP_1) | instskip(SKIP_2) | instid1(SALU_CYCLE_1)
	s_and_b32 s0, s0, s1
	s_and_not1_b32 s1, s2, exec_lo
	s_and_b32 s0, s0, exec_lo
	s_or_b32 s2, s1, s0
.LBB61_24:                              ;   in Loop: Header=BB61_6 Depth=1
	s_or_b32 exec_lo, exec_lo, s3
	s_delay_alu instid0(VALU_DEP_2)
	s_and_saveexec_b32 s0, s2
	s_cbranch_execz .LBB61_26
; %bb.25:                               ;   in Loop: Header=BB61_6 Depth=1
	s_waitcnt lgkmcnt(0)
	v_dual_mov_b32 v13, v15 :: v_dual_mov_b32 v12, v14
.LBB61_26:                              ;   in Loop: Header=BB61_6 Depth=1
	s_or_b32 exec_lo, exec_lo, s0
	s_waitcnt lgkmcnt(0)
	ds_bpermute_b32 v14, v8, v13
	ds_bpermute_b32 v15, v8, v12
	s_mov_b32 s3, exec_lo
	s_waitcnt lgkmcnt(1)
	v_cmp_lt_f32_e64 s2, v13, v14
	v_cmpx_nlt_f32_e32 v13, v14
	s_cbranch_execnz .LBB61_32
; %bb.27:                               ;   in Loop: Header=BB61_6 Depth=1
	s_or_b32 exec_lo, exec_lo, s3
	s_delay_alu instid0(VALU_DEP_2)
	s_and_saveexec_b32 s0, s2
	s_cbranch_execnz .LBB61_33
.LBB61_28:                              ;   in Loop: Header=BB61_6 Depth=1
	s_or_b32 exec_lo, exec_lo, s0
	s_and_saveexec_b32 s2, vcc_lo
	s_cbranch_execz .LBB61_30
.LBB61_29:                              ;   in Loop: Header=BB61_6 Depth=1
	v_add_nc_u32_e32 v14, s7, v9
	v_subrev_nc_u32_e32 v18, s5, v12
	v_cmp_le_i32_e64 s0, s5, v12
	v_cmp_gt_i32_e64 s1, s6, v12
	s_waitcnt lgkmcnt(0)
	v_ashrrev_i32_e32 v15, 31, v14
	v_ashrrev_i32_e32 v19, 31, v18
	s_delay_alu instid0(VALU_DEP_3) | instskip(NEXT) | instid1(SALU_CYCLE_1)
	s_and_b32 s0, s0, s1
	s_and_b32 s0, s15, s0
	s_delay_alu instid0(VALU_DEP_2) | instskip(SKIP_3) | instid1(VALU_DEP_4)
	v_lshlrev_b64 v[16:17], 2, v[14:15]
	v_lshlrev_b64 v[14:15], 3, v[14:15]
	v_cndmask_b32_e64 v19, 0, v19, s0
	v_cndmask_b32_e64 v18, 0x100, v18, s0
	v_add_co_u32 v20, s0, s12, v16
	s_delay_alu instid0(VALU_DEP_1) | instskip(SKIP_1) | instid1(VALU_DEP_1)
	v_add_co_ci_u32_e64 v21, s0, s13, v17, s0
	v_add_co_u32 v14, s0, s8, v14
	v_add_co_ci_u32_e64 v15, s0, s9, v15, s0
	v_add_co_u32 v16, s0, s10, v16
	s_delay_alu instid0(VALU_DEP_1)
	v_add_co_ci_u32_e64 v17, s0, s11, v17, s0
	global_store_b32 v[20:21], v13, off
	global_store_b64 v[14:15], v[18:19], off
	global_store_b32 v[16:17], v1, off
.LBB61_30:                              ;   in Loop: Header=BB61_6 Depth=1
	s_or_b32 exec_lo, exec_lo, s2
	v_ashrrev_i32_e32 v13, 31, v12
	s_add_i32 s7, s7, 1
	s_delay_alu instid0(SALU_CYCLE_1) | instskip(SKIP_1) | instid1(VALU_DEP_1)
	s_cmp_lt_i32 s7, s4
	s_cselect_b32 s1, -1, 0
	v_lshrrev_b32_e32 v14, 30, v13
	s_delay_alu instid0(VALU_DEP_1) | instskip(SKIP_1) | instid1(VALU_DEP_1)
	v_add_nc_u32_e32 v14, v12, v14
	s_waitcnt lgkmcnt(0)
	v_ashrrev_i32_e32 v15, 31, v14
	v_ashrrev_i32_e32 v14, 2, v14
	s_delay_alu instid0(VALU_DEP_2) | instskip(NEXT) | instid1(VALU_DEP_1)
	v_lshrrev_b32_e32 v15, 26, v15
	v_add_nc_u32_e32 v15, v14, v15
	s_delay_alu instid0(VALU_DEP_1) | instskip(NEXT) | instid1(VALU_DEP_1)
	v_and_b32_e32 v15, 0xffffffc0, v15
	v_sub_nc_u32_e32 v15, v14, v15
	s_delay_alu instid0(VALU_DEP_1) | instskip(NEXT) | instid1(VALU_DEP_1)
	v_cmp_eq_u32_e64 s0, v2, v15
	s_and_b32 s1, s1, s0
	s_delay_alu instid0(SALU_CYCLE_1)
	s_and_saveexec_b32 s0, s1
	s_cbranch_execz .LBB61_5
; %bb.31:                               ;   in Loop: Header=BB61_6 Depth=1
	v_lshrrev_b32_e32 v13, 24, v13
	v_lshlrev_b32_e32 v14, 2, v14
	s_delay_alu instid0(VALU_DEP_2) | instskip(NEXT) | instid1(VALU_DEP_2)
	v_add_nc_u32_e32 v13, v12, v13
	v_sub_nc_u32_e32 v12, v12, v14
	s_delay_alu instid0(VALU_DEP_2) | instskip(NEXT) | instid1(VALU_DEP_1)
	v_ashrrev_i32_e32 v13, 8, v13
	v_lshl_add_u32 v12, v13, 2, v12
	s_delay_alu instid0(VALU_DEP_1)
	v_lshl_add_u32 v12, v12, 2, v0
	ds_store_b32 v12, v11
	s_branch .LBB61_5
.LBB61_32:                              ;   in Loop: Header=BB61_6 Depth=1
	v_cmp_eq_f32_e64 s0, v13, v14
	s_waitcnt lgkmcnt(0)
	v_cmp_lt_i32_e64 s1, v15, v12
	s_delay_alu instid0(VALU_DEP_1) | instskip(SKIP_2) | instid1(SALU_CYCLE_1)
	s_and_b32 s0, s0, s1
	s_and_not1_b32 s1, s2, exec_lo
	s_and_b32 s0, s0, exec_lo
	s_or_b32 s2, s1, s0
	s_or_b32 exec_lo, exec_lo, s3
	s_and_saveexec_b32 s0, s2
	s_cbranch_execz .LBB61_28
.LBB61_33:                              ;   in Loop: Header=BB61_6 Depth=1
	s_waitcnt lgkmcnt(0)
	v_dual_mov_b32 v13, v14 :: v_dual_mov_b32 v12, v15
	s_or_b32 exec_lo, exec_lo, s0
	s_and_saveexec_b32 s2, vcc_lo
	s_cbranch_execnz .LBB61_29
	s_branch .LBB61_30
.LBB61_34:
	s_nop 0
	s_sendmsg sendmsg(MSG_DEALLOC_VGPRS)
	s_endpgm
	.section	.rodata,"a",@progbits
	.p2align	6, 0x0
	.amdhsa_kernel _ZN4vllm3moe17topkGatingSoftmaxILi4ELi256ELi4ELi16ELi64ElEEvPKfPKbPfiPT4_Piiii
		.amdhsa_group_segment_fixed_size 4096
		.amdhsa_private_segment_fixed_size 0
		.amdhsa_kernarg_size 60
		.amdhsa_user_sgpr_count 15
		.amdhsa_user_sgpr_dispatch_ptr 1
		.amdhsa_user_sgpr_queue_ptr 0
		.amdhsa_user_sgpr_kernarg_segment_ptr 1
		.amdhsa_user_sgpr_dispatch_id 0
		.amdhsa_user_sgpr_private_segment_size 0
		.amdhsa_wavefront_size32 1
		.amdhsa_uses_dynamic_stack 0
		.amdhsa_enable_private_segment 0
		.amdhsa_system_sgpr_workgroup_id_x 1
		.amdhsa_system_sgpr_workgroup_id_y 0
		.amdhsa_system_sgpr_workgroup_id_z 0
		.amdhsa_system_sgpr_workgroup_info 0
		.amdhsa_system_vgpr_workitem_id 2
		.amdhsa_next_free_vgpr 27
		.amdhsa_next_free_sgpr 16
		.amdhsa_reserve_vcc 1
		.amdhsa_float_round_mode_32 0
		.amdhsa_float_round_mode_16_64 0
		.amdhsa_float_denorm_mode_32 3
		.amdhsa_float_denorm_mode_16_64 3
		.amdhsa_dx10_clamp 1
		.amdhsa_ieee_mode 1
		.amdhsa_fp16_overflow 0
		.amdhsa_workgroup_processor_mode 1
		.amdhsa_memory_ordered 1
		.amdhsa_forward_progress 0
		.amdhsa_shared_vgpr_count 0
		.amdhsa_exception_fp_ieee_invalid_op 0
		.amdhsa_exception_fp_denorm_src 0
		.amdhsa_exception_fp_ieee_div_zero 0
		.amdhsa_exception_fp_ieee_overflow 0
		.amdhsa_exception_fp_ieee_underflow 0
		.amdhsa_exception_fp_ieee_inexact 0
		.amdhsa_exception_int_div_zero 0
	.end_amdhsa_kernel
	.section	.text._ZN4vllm3moe17topkGatingSoftmaxILi4ELi256ELi4ELi16ELi64ElEEvPKfPKbPfiPT4_Piiii,"axG",@progbits,_ZN4vllm3moe17topkGatingSoftmaxILi4ELi256ELi4ELi16ELi64ElEEvPKfPKbPfiPT4_Piiii,comdat
.Lfunc_end61:
	.size	_ZN4vllm3moe17topkGatingSoftmaxILi4ELi256ELi4ELi16ELi64ElEEvPKfPKbPfiPT4_Piiii, .Lfunc_end61-_ZN4vllm3moe17topkGatingSoftmaxILi4ELi256ELi4ELi16ELi64ElEEvPKfPKbPfiPT4_Piiii
                                        ; -- End function
	.section	.AMDGPU.csdata,"",@progbits
; Kernel info:
; codeLenInByte = 2440
; NumSgprs: 18
; NumVgprs: 27
; ScratchSize: 0
; MemoryBound: 0
; FloatMode: 240
; IeeeMode: 1
; LDSByteSize: 4096 bytes/workgroup (compile time only)
; SGPRBlocks: 2
; VGPRBlocks: 3
; NumSGPRsForWavesPerEU: 18
; NumVGPRsForWavesPerEU: 27
; Occupancy: 16
; WaveLimiterHint : 0
; COMPUTE_PGM_RSRC2:SCRATCH_EN: 0
; COMPUTE_PGM_RSRC2:USER_SGPR: 15
; COMPUTE_PGM_RSRC2:TRAP_HANDLER: 0
; COMPUTE_PGM_RSRC2:TGID_X_EN: 1
; COMPUTE_PGM_RSRC2:TGID_Y_EN: 0
; COMPUTE_PGM_RSRC2:TGID_Z_EN: 0
; COMPUTE_PGM_RSRC2:TIDIG_COMP_CNT: 2
	.section	.text._ZN4vllm3moe17topkGatingSoftmaxILi8ELi256ELi4ELi16ELi32ElEEvPKfPKbPfiPT4_Piiii,"axG",@progbits,_ZN4vllm3moe17topkGatingSoftmaxILi8ELi256ELi4ELi16ELi32ElEEvPKfPKbPfiPT4_Piiii,comdat
	.protected	_ZN4vllm3moe17topkGatingSoftmaxILi8ELi256ELi4ELi16ELi32ElEEvPKfPKbPfiPT4_Piiii ; -- Begin function _ZN4vllm3moe17topkGatingSoftmaxILi8ELi256ELi4ELi16ELi32ElEEvPKfPKbPfiPT4_Piiii
	.globl	_ZN4vllm3moe17topkGatingSoftmaxILi8ELi256ELi4ELi16ELi32ElEEvPKfPKbPfiPT4_Piiii
	.p2align	8
	.type	_ZN4vllm3moe17topkGatingSoftmaxILi8ELi256ELi4ELi16ELi32ElEEvPKfPKbPfiPT4_Piiii,@function
_ZN4vllm3moe17topkGatingSoftmaxILi8ELi256ELi4ELi16ELi32ElEEvPKfPKbPfiPT4_Piiii: ; @_ZN4vllm3moe17topkGatingSoftmaxILi8ELi256ELi4ELi16ELi32ElEEvPKfPKbPfiPT4_Piiii
; %bb.0:
	s_load_b32 s14, s[2:3], 0x18
	v_and_b32_e32 v8, 0x3ff, v0
	v_bfe_u32 v9, v0, 10, 10
	s_lshl_b32 s4, s15, 2
	s_delay_alu instid0(VALU_DEP_2) | instskip(NEXT) | instid1(VALU_DEP_1)
	v_lshrrev_b32_e32 v1, 5, v8
	v_add3_u32 v1, s4, v9, v1
	s_mov_b32 s4, exec_lo
	s_waitcnt lgkmcnt(0)
	s_delay_alu instid0(VALU_DEP_1)
	v_cmpx_gt_i32_e64 s14, v1
	s_cbranch_execz .LBB62_30
; %bb.1:
	s_clause 0x1
	s_load_b128 s[4:7], s[2:3], 0x0
	s_load_b64 s[12:13], s[2:3], 0x10
	s_mov_b32 s15, -1
	s_waitcnt lgkmcnt(0)
	s_cmp_eq_u64 s[6:7], 0
	s_cbranch_scc1 .LBB62_3
; %bb.2:
	v_ashrrev_i32_e32 v3, 31, v1
	v_add_co_u32 v2, vcc_lo, s6, v1
	s_delay_alu instid0(VALU_DEP_2) | instskip(SKIP_3) | instid1(VALU_DEP_1)
	v_add_co_ci_u32_e32 v3, vcc_lo, s7, v3, vcc_lo
	global_load_u8 v2, v[2:3], off
	s_waitcnt vmcnt(0)
	v_and_b32_e32 v2, 1, v2
	v_cmp_eq_u32_e32 vcc_lo, 1, v2
	s_xor_b32 s6, vcc_lo, -1
	s_delay_alu instid0(SALU_CYCLE_1)
	s_or_not1_b32 s15, s6, exec_lo
.LBB62_3:
	v_lshlrev_b32_e32 v3, 8, v1
	v_and_b32_e32 v2, 31, v8
	v_mbcnt_lo_u32_b32 v7, -1, 0
	s_load_b64 s[0:1], s[0:1], 0x4
	v_bfe_u32 v0, v0, 20, 10
	v_ashrrev_i32_e32 v4, 31, v3
	v_lshlrev_b32_e32 v5, 4, v2
	v_xor_b32_e32 v6, 8, v7
	s_delay_alu instid0(VALU_DEP_3) | instskip(NEXT) | instid1(VALU_DEP_1)
	v_lshlrev_b64 v[3:4], 2, v[3:4]
	v_add_co_u32 v3, vcc_lo, s4, v3
	s_delay_alu instid0(VALU_DEP_2) | instskip(SKIP_1) | instid1(VALU_DEP_2)
	v_add_co_ci_u32_e32 v4, vcc_lo, s5, v4, vcc_lo
	s_load_b128 s[4:7], s[2:3], 0x30
	v_add_co_u32 v3, vcc_lo, v3, v5
	s_delay_alu instid0(VALU_DEP_2)
	v_add_co_ci_u32_e32 v4, vcc_lo, 0, v4, vcc_lo
	s_waitcnt lgkmcnt(0)
	v_mul_u32_u24_e32 v9, s1, v9
	s_lshr_b32 s0, s0, 16
	s_mov_b32 s7, 0
	s_clause 0x1
	global_load_b128 v[10:13], v[3:4], off
	global_load_b128 v[14:17], v[3:4], off offset:512
	s_mul_i32 s0, s0, s1
	s_delay_alu instid0(SALU_CYCLE_1) | instskip(NEXT) | instid1(VALU_DEP_1)
	v_mad_u32_u24 v8, s0, v8, v9
	v_add_lshl_u32 v0, v8, v0, 5
	s_cmp_lt_i32 s4, 1
	s_waitcnt vmcnt(1)
	v_dual_max_f32 v3, v11, v11 :: v_dual_max_f32 v4, v10, v10
	s_delay_alu instid0(VALU_DEP_1) | instskip(SKIP_1) | instid1(VALU_DEP_1)
	v_max_f32_e32 v3, v4, v3
	v_xor_b32_e32 v4, 16, v7
	v_cmp_gt_i32_e32 vcc_lo, 32, v4
	v_cndmask_b32_e32 v4, v7, v4, vcc_lo
	v_cmp_gt_i32_e32 vcc_lo, 32, v6
	v_cndmask_b32_e32 v6, v7, v6, vcc_lo
	v_max3_f32 v3, v3, v12, v13
	s_waitcnt vmcnt(0)
	s_delay_alu instid0(VALU_DEP_1) | instskip(NEXT) | instid1(VALU_DEP_1)
	v_max3_f32 v5, v3, v14, v15
	v_max3_f32 v5, v5, v16, v17
	v_lshlrev_b32_e32 v3, 2, v4
	ds_bpermute_b32 v4, v3, v5
	s_waitcnt lgkmcnt(0)
	v_max_f32_e32 v18, v4, v4
	v_lshlrev_b32_e32 v4, 2, v6
	s_delay_alu instid0(VALU_DEP_2)
	v_max_f32_e32 v6, v5, v18
	v_xor_b32_e32 v18, 4, v7
	ds_bpermute_b32 v5, v4, v6
	v_cmp_gt_i32_e32 vcc_lo, 32, v18
	s_waitcnt lgkmcnt(0)
	v_dual_cndmask_b32 v18, v7, v18 :: v_dual_max_f32 v19, v5, v5
	s_delay_alu instid0(VALU_DEP_1)
	v_dual_max_f32 v18, v6, v19 :: v_dual_lshlrev_b32 v5, 2, v18
	v_xor_b32_e32 v19, 2, v7
	ds_bpermute_b32 v6, v5, v18
	v_cmp_gt_i32_e32 vcc_lo, 32, v19
	s_waitcnt lgkmcnt(0)
	v_dual_cndmask_b32 v19, v7, v19 :: v_dual_max_f32 v20, v6, v6
	s_delay_alu instid0(VALU_DEP_1) | instskip(SKIP_1) | instid1(VALU_DEP_1)
	v_max_f32_e32 v18, v18, v20
	v_xor_b32_e32 v20, 1, v7
	v_cmp_gt_i32_e32 vcc_lo, 32, v20
	s_delay_alu instid0(VALU_DEP_4) | instskip(SKIP_4) | instid1(VALU_DEP_1)
	v_dual_cndmask_b32 v7, v7, v20 :: v_dual_lshlrev_b32 v6, 2, v19
	ds_bpermute_b32 v19, v6, v18
	v_lshlrev_b32_e32 v7, 2, v7
	s_waitcnt lgkmcnt(0)
	v_max_f32_e32 v19, v19, v19
	v_max_f32_e32 v18, v18, v19
	ds_bpermute_b32 v19, v7, v18
	s_waitcnt lgkmcnt(0)
	v_max_f32_e32 v19, v19, v19
	s_delay_alu instid0(VALU_DEP_1) | instskip(NEXT) | instid1(VALU_DEP_1)
	v_max_f32_e32 v18, v18, v19
	v_sub_f32_e32 v17, v17, v18
	s_delay_alu instid0(VALU_DEP_1)
	v_mul_f32_e32 v25, 0x3fb8aa3b, v17
	v_sub_f32_e32 v15, v15, v18
	v_sub_f32_e32 v12, v12, v18
	;; [unrolled: 1-line block ×4, first 2 shown]
	v_rndne_f32_e32 v41, v25
	v_mul_f32_e32 v23, 0x3fb8aa3b, v15
	v_dual_sub_f32 v11, v11, v18 :: v_dual_mul_f32 v20, 0x3fb8aa3b, v12
	v_sub_f32_e32 v10, v10, v18
	v_mul_f32_e32 v24, 0x3fb8aa3b, v16
	s_delay_alu instid0(VALU_DEP_4) | instskip(NEXT) | instid1(VALU_DEP_4)
	v_rndne_f32_e32 v37, v23
	v_mul_f32_e32 v19, 0x3fb8aa3b, v11
	v_mul_f32_e32 v21, 0x3fb8aa3b, v13
	v_fma_f32 v30, 0x3fb8aa3b, v12, -v20
	v_rndne_f32_e32 v31, v20
	v_cmp_ngt_f32_e32 vcc_lo, 0xc2ce8ed0, v10
	v_fma_f32 v28, 0x3fb8aa3b, v11, -v19
	v_rndne_f32_e32 v29, v19
	v_sub_f32_e32 v14, v14, v18
	v_mul_f32_e32 v18, 0x3fb8aa3b, v10
	v_fma_f32 v32, 0x3fb8aa3b, v13, -v21
	v_fmac_f32_e32 v28, 0x32a5705f, v11
	v_fma_f32 v40, 0x3fb8aa3b, v17, -v25
	v_dual_sub_f32 v19, v19, v29 :: v_dual_mul_f32 v22, 0x3fb8aa3b, v14
	v_sub_f32_e32 v25, v25, v41
	v_fma_f32 v26, 0x3fb8aa3b, v10, -v18
	v_rndne_f32_e32 v27, v18
	v_fmac_f32_e32 v40, 0x32a5705f, v17
	v_fma_f32 v34, 0x3fb8aa3b, v14, -v22
	s_delay_alu instid0(VALU_DEP_4) | instskip(NEXT) | instid1(VALU_DEP_3)
	v_dual_add_f32 v19, v19, v28 :: v_dual_fmac_f32 v26, 0x32a5705f, v10
	v_dual_sub_f32 v18, v18, v27 :: v_dual_add_f32 v25, v25, v40
	s_delay_alu instid0(VALU_DEP_3) | instskip(SKIP_2) | instid1(VALU_DEP_4)
	v_fmac_f32_e32 v34, 0x32a5705f, v14
	v_fma_f32 v36, 0x3fb8aa3b, v15, -v23
	v_cvt_i32_f32_e32 v27, v27
	v_add_f32_e32 v18, v18, v26
	v_exp_f32_e32 v25, v25
	v_exp_f32_e32 v19, v19
	v_cvt_i32_f32_e32 v28, v41
	v_rndne_f32_e32 v33, v21
	v_exp_f32_e32 v18, v18
	v_cvt_i32_f32_e32 v29, v29
	v_sub_f32_e32 v23, v23, v37
	v_rndne_f32_e32 v35, v22
	v_sub_f32_e32 v21, v21, v33
	v_cvt_i32_f32_e32 v33, v33
	v_ldexp_f32 v25, v25, v28
	v_fmac_f32_e32 v36, 0x32a5705f, v15
	v_fmac_f32_e32 v32, 0x32a5705f, v13
	v_ldexp_f32 v19, v19, v29
	v_ldexp_f32 v18, v18, v27
	v_fma_f32 v38, 0x3fb8aa3b, v16, -v24
	v_dual_add_f32 v23, v23, v36 :: v_dual_sub_f32 v20, v20, v31
	s_delay_alu instid0(VALU_DEP_3) | instskip(SKIP_3) | instid1(VALU_DEP_4)
	v_dual_add_f32 v21, v21, v32 :: v_dual_cndmask_b32 v18, 0, v18
	v_cmp_ngt_f32_e32 vcc_lo, 0xc2ce8ed0, v11
	v_fmac_f32_e32 v30, 0x32a5705f, v12
	v_cvt_i32_f32_e32 v31, v31
	v_exp_f32_e32 v21, v21
	v_rndne_f32_e32 v39, v24
	s_delay_alu instid0(VALU_DEP_3) | instskip(SKIP_2) | instid1(VALU_DEP_3)
	v_dual_cndmask_b32 v19, 0, v19 :: v_dual_add_f32 v20, v20, v30
	v_cmp_ngt_f32_e32 vcc_lo, 0xc2ce8ed0, v12
	v_exp_f32_e32 v23, v23
	v_sub_f32_e32 v24, v24, v39
	v_cvt_i32_f32_e32 v37, v37
	v_exp_f32_e32 v20, v20
	v_cvt_i32_f32_e32 v26, v39
	s_delay_alu instid0(TRANS32_DEP_3) | instskip(SKIP_3) | instid1(VALU_DEP_1)
	v_ldexp_f32 v21, v21, v33
	s_waitcnt_depctr 0xfff
	v_ldexp_f32 v23, v23, v37
	v_ldexp_f32 v20, v20, v31
	v_cndmask_b32_e32 v20, 0, v20, vcc_lo
	v_cmp_nlt_f32_e32 vcc_lo, 0x42b17218, v10
	v_cndmask_b32_e32 v10, 0x7f800000, v18, vcc_lo
	v_cmp_nlt_f32_e32 vcc_lo, 0x42b17218, v11
	v_cndmask_b32_e32 v11, 0x7f800000, v19, vcc_lo
	v_cmp_ngt_f32_e32 vcc_lo, 0xc2ce8ed0, v13
	s_delay_alu instid0(VALU_DEP_2)
	v_dual_fmac_f32 v38, 0x32a5705f, v16 :: v_dual_add_f32 v19, v10, v11
	v_cndmask_b32_e32 v18, 0, v21, vcc_lo
	v_sub_f32_e32 v22, v22, v35
	v_cvt_i32_f32_e32 v35, v35
	v_cmp_nlt_f32_e32 vcc_lo, 0x42b17218, v12
	v_add_f32_e32 v24, v24, v38
	s_delay_alu instid0(VALU_DEP_4) | instskip(SKIP_2) | instid1(VALU_DEP_4)
	v_add_f32_e32 v22, v22, v34
	v_cndmask_b32_e32 v12, 0x7f800000, v20, vcc_lo
	v_cmp_ngt_f32_e32 vcc_lo, 0xc2ce8ed0, v14
	v_exp_f32_e32 v24, v24
	s_delay_alu instid0(VALU_DEP_3) | instskip(SKIP_3) | instid1(VALU_DEP_1)
	v_exp_f32_e32 v22, v22
	s_waitcnt_depctr 0xfff
	v_ldexp_f32 v24, v24, v26
	v_ldexp_f32 v22, v22, v35
	v_cndmask_b32_e32 v20, 0, v22, vcc_lo
	v_cmp_nlt_f32_e32 vcc_lo, 0x42b17218, v13
	v_cndmask_b32_e32 v13, 0x7f800000, v18, vcc_lo
	v_cmp_ngt_f32_e32 vcc_lo, 0xc2ce8ed0, v15
	v_dual_add_f32 v18, v19, v12 :: v_dual_cndmask_b32 v19, 0, v23
	v_cmp_nlt_f32_e32 vcc_lo, 0x42b17218, v14
	s_delay_alu instid0(VALU_DEP_2) | instskip(SKIP_2) | instid1(VALU_DEP_2)
	v_add_f32_e32 v18, v18, v13
	v_cndmask_b32_e32 v14, 0x7f800000, v20, vcc_lo
	v_cmp_ngt_f32_e32 vcc_lo, 0xc2ce8ed0, v16
	v_add_f32_e32 v18, v18, v14
	v_cndmask_b32_e32 v20, 0, v24, vcc_lo
	v_cmp_nlt_f32_e32 vcc_lo, 0x42b17218, v15
	v_cndmask_b32_e32 v15, 0x7f800000, v19, vcc_lo
	v_cmp_ngt_f32_e32 vcc_lo, 0xc2ce8ed0, v17
	s_delay_alu instid0(VALU_DEP_2) | instskip(SKIP_3) | instid1(VALU_DEP_2)
	v_dual_add_f32 v18, v18, v15 :: v_dual_cndmask_b32 v19, 0, v25
	v_cmp_nlt_f32_e32 vcc_lo, 0x42b17218, v16
	v_cndmask_b32_e32 v16, 0x7f800000, v20, vcc_lo
	v_cmp_nlt_f32_e32 vcc_lo, 0x42b17218, v17
	v_dual_add_f32 v18, v18, v16 :: v_dual_cndmask_b32 v17, 0x7f800000, v19
	s_delay_alu instid0(VALU_DEP_1)
	v_add_f32_e32 v18, v18, v17
	ds_bpermute_b32 v19, v3, v18
	s_waitcnt lgkmcnt(0)
	v_add_f32_e32 v18, v18, v19
	ds_bpermute_b32 v19, v4, v18
	s_waitcnt lgkmcnt(0)
	;; [unrolled: 3-line block ×5, first 2 shown]
	v_add_f32_e32 v18, v18, v19
	s_delay_alu instid0(VALU_DEP_1) | instskip(SKIP_1) | instid1(VALU_DEP_2)
	v_div_scale_f32 v19, null, v18, v18, 1.0
	v_div_scale_f32 v22, vcc_lo, 1.0, v18, 1.0
	v_rcp_f32_e32 v20, v19
	s_waitcnt_depctr 0xfff
	v_fma_f32 v21, -v19, v20, 1.0
	s_delay_alu instid0(VALU_DEP_1) | instskip(NEXT) | instid1(VALU_DEP_1)
	v_fmac_f32_e32 v20, v21, v20
	v_mul_f32_e32 v21, v22, v20
	s_delay_alu instid0(VALU_DEP_1) | instskip(NEXT) | instid1(VALU_DEP_1)
	v_fma_f32 v23, -v19, v21, v22
	v_fmac_f32_e32 v21, v23, v20
	s_delay_alu instid0(VALU_DEP_1) | instskip(NEXT) | instid1(VALU_DEP_1)
	v_fma_f32 v19, -v19, v21, v22
	v_div_fmas_f32 v19, v19, v20, v21
	s_delay_alu instid0(VALU_DEP_1) | instskip(NEXT) | instid1(VALU_DEP_1)
	v_div_fixup_f32 v18, v19, v18, 1.0
	v_mul_f32_e32 v9, v18, v11
	v_mul_f32_e32 v11, v18, v13
	;; [unrolled: 1-line block ×8, first 2 shown]
	ds_store_b128 v0, v[8:11]
	ds_store_b128 v0, v[12:15] offset:16
	s_cbranch_scc1 .LBB62_30
; %bb.4:
	s_load_b128 s[8:11], s[2:3], 0x20
	v_mul_lo_u32 v8, v1, s4
	v_dual_mov_b32 v10, 0xc61c4000 :: v_dual_lshlrev_b32 v9, 2, v2
	v_cmp_eq_u32_e32 vcc_lo, 0, v2
	s_branch .LBB62_6
.LBB62_5:                               ;   in Loop: Header=BB62_6 Depth=1
	s_or_b32 exec_lo, exec_lo, s0
	v_add_nc_u32_e32 v1, s14, v1
	s_cmp_lg_u32 s4, s7
	s_cbranch_scc0 .LBB62_30
.LBB62_6:                               ; =>This Inner Loop Header: Depth=1
	ds_load_b128 v[11:14], v0
	ds_load_b128 v[15:18], v0 offset:16
	s_mov_b32 s3, exec_lo
	s_waitcnt lgkmcnt(0)
	v_cmp_gt_f32_e64 s0, v12, v11
	s_delay_alu instid0(VALU_DEP_1) | instskip(SKIP_1) | instid1(VALU_DEP_2)
	v_cndmask_b32_e64 v11, v11, v12, s0
	v_cndmask_b32_e64 v12, 0, 1, s0
	v_cmp_gt_f32_e64 s0, v13, v11
	s_delay_alu instid0(VALU_DEP_1) | instskip(NEXT) | instid1(VALU_DEP_3)
	v_cndmask_b32_e64 v11, v11, v13, s0
	v_cndmask_b32_e64 v12, v12, 2, s0
	s_delay_alu instid0(VALU_DEP_2) | instskip(NEXT) | instid1(VALU_DEP_1)
	v_cmp_gt_f32_e64 s0, v14, v11
	v_cndmask_b32_e64 v11, v11, v14, s0
	s_delay_alu instid0(VALU_DEP_3) | instskip(NEXT) | instid1(VALU_DEP_2)
	v_cndmask_b32_e64 v12, v12, 3, s0
	v_cmp_gt_f32_e64 s0, v15, v11
	s_delay_alu instid0(VALU_DEP_1) | instskip(NEXT) | instid1(VALU_DEP_3)
	v_cndmask_b32_e64 v11, v11, v15, s0
	v_cndmask_b32_e64 v12, v12, 0x80, s0
	s_delay_alu instid0(VALU_DEP_2) | instskip(NEXT) | instid1(VALU_DEP_1)
	v_cmp_gt_f32_e64 s0, v16, v11
	v_cndmask_b32_e64 v11, v11, v16, s0
	s_delay_alu instid0(VALU_DEP_3) | instskip(NEXT) | instid1(VALU_DEP_2)
	v_cndmask_b32_e64 v12, v12, 0x81, s0
	v_cmp_gt_f32_e64 s0, v17, v11
	s_delay_alu instid0(VALU_DEP_1) | instskip(NEXT) | instid1(VALU_DEP_3)
	v_cndmask_b32_e64 v11, v11, v17, s0
	v_cndmask_b32_e64 v13, v12, 0x82, s0
	s_delay_alu instid0(VALU_DEP_2) | instskip(NEXT) | instid1(VALU_DEP_1)
	v_cmp_gt_f32_e64 s0, v18, v11
	v_cndmask_b32_e64 v12, v11, v18, s0
	s_delay_alu instid0(VALU_DEP_3)
	v_cndmask_b32_e64 v11, v13, 0x83, s0
	ds_bpermute_b32 v13, v3, v12
	v_or_b32_e32 v11, v9, v11
	ds_bpermute_b32 v14, v3, v11
	s_waitcnt lgkmcnt(1)
	v_cmp_lt_f32_e64 s2, v12, v13
	v_cmpx_nlt_f32_e32 v12, v13
	s_cbranch_execz .LBB62_8
; %bb.7:                                ;   in Loop: Header=BB62_6 Depth=1
	v_cmp_eq_f32_e64 s0, v12, v13
	s_waitcnt lgkmcnt(0)
	v_cmp_lt_i32_e64 s1, v14, v11
	s_delay_alu instid0(VALU_DEP_1) | instskip(SKIP_2) | instid1(SALU_CYCLE_1)
	s_and_b32 s0, s0, s1
	s_and_not1_b32 s1, s2, exec_lo
	s_and_b32 s0, s0, exec_lo
	s_or_b32 s2, s1, s0
.LBB62_8:                               ;   in Loop: Header=BB62_6 Depth=1
	s_or_b32 exec_lo, exec_lo, s3
	s_delay_alu instid0(VALU_DEP_2)
	s_and_saveexec_b32 s0, s2
	s_cbranch_execz .LBB62_10
; %bb.9:                                ;   in Loop: Header=BB62_6 Depth=1
	s_waitcnt lgkmcnt(0)
	v_dual_mov_b32 v12, v13 :: v_dual_mov_b32 v11, v14
.LBB62_10:                              ;   in Loop: Header=BB62_6 Depth=1
	s_or_b32 exec_lo, exec_lo, s0
	s_waitcnt lgkmcnt(0)
	ds_bpermute_b32 v14, v4, v12
	ds_bpermute_b32 v13, v4, v11
	s_mov_b32 s3, exec_lo
	s_waitcnt lgkmcnt(1)
	v_cmp_lt_f32_e64 s2, v12, v14
	v_cmpx_nlt_f32_e32 v12, v14
	s_cbranch_execz .LBB62_12
; %bb.11:                               ;   in Loop: Header=BB62_6 Depth=1
	v_cmp_eq_f32_e64 s0, v12, v14
	s_waitcnt lgkmcnt(0)
	v_cmp_lt_i32_e64 s1, v13, v11
	s_delay_alu instid0(VALU_DEP_1) | instskip(SKIP_2) | instid1(SALU_CYCLE_1)
	s_and_b32 s0, s0, s1
	s_and_not1_b32 s1, s2, exec_lo
	s_and_b32 s0, s0, exec_lo
	s_or_b32 s2, s1, s0
.LBB62_12:                              ;   in Loop: Header=BB62_6 Depth=1
	s_or_b32 exec_lo, exec_lo, s3
	s_delay_alu instid0(VALU_DEP_2)
	s_and_saveexec_b32 s0, s2
	s_cbranch_execz .LBB62_14
; %bb.13:                               ;   in Loop: Header=BB62_6 Depth=1
	s_waitcnt lgkmcnt(0)
	v_dual_mov_b32 v12, v14 :: v_dual_mov_b32 v11, v13
.LBB62_14:                              ;   in Loop: Header=BB62_6 Depth=1
	s_or_b32 exec_lo, exec_lo, s0
	ds_bpermute_b32 v14, v5, v12
	s_waitcnt lgkmcnt(1)
	ds_bpermute_b32 v13, v5, v11
	s_mov_b32 s3, exec_lo
	s_waitcnt lgkmcnt(1)
	v_cmp_lt_f32_e64 s2, v12, v14
	v_cmpx_nlt_f32_e32 v12, v14
	s_cbranch_execz .LBB62_16
; %bb.15:                               ;   in Loop: Header=BB62_6 Depth=1
	v_cmp_eq_f32_e64 s0, v12, v14
	s_waitcnt lgkmcnt(0)
	v_cmp_lt_i32_e64 s1, v13, v11
	s_delay_alu instid0(VALU_DEP_1) | instskip(SKIP_2) | instid1(SALU_CYCLE_1)
	s_and_b32 s0, s0, s1
	s_and_not1_b32 s1, s2, exec_lo
	s_and_b32 s0, s0, exec_lo
	s_or_b32 s2, s1, s0
.LBB62_16:                              ;   in Loop: Header=BB62_6 Depth=1
	s_or_b32 exec_lo, exec_lo, s3
	s_delay_alu instid0(VALU_DEP_2)
	s_and_saveexec_b32 s0, s2
	s_cbranch_execz .LBB62_18
; %bb.17:                               ;   in Loop: Header=BB62_6 Depth=1
	s_waitcnt lgkmcnt(0)
	v_dual_mov_b32 v12, v14 :: v_dual_mov_b32 v11, v13
.LBB62_18:                              ;   in Loop: Header=BB62_6 Depth=1
	s_or_b32 exec_lo, exec_lo, s0
	ds_bpermute_b32 v14, v6, v12
	s_waitcnt lgkmcnt(1)
	ds_bpermute_b32 v13, v6, v11
	s_mov_b32 s3, exec_lo
	s_waitcnt lgkmcnt(1)
	v_cmp_lt_f32_e64 s2, v12, v14
	v_cmpx_nlt_f32_e32 v12, v14
	s_cbranch_execz .LBB62_20
; %bb.19:                               ;   in Loop: Header=BB62_6 Depth=1
	v_cmp_eq_f32_e64 s0, v12, v14
	s_waitcnt lgkmcnt(0)
	v_cmp_lt_i32_e64 s1, v13, v11
	s_delay_alu instid0(VALU_DEP_1) | instskip(SKIP_2) | instid1(SALU_CYCLE_1)
	s_and_b32 s0, s0, s1
	s_and_not1_b32 s1, s2, exec_lo
	s_and_b32 s0, s0, exec_lo
	s_or_b32 s2, s1, s0
.LBB62_20:                              ;   in Loop: Header=BB62_6 Depth=1
	s_or_b32 exec_lo, exec_lo, s3
	s_delay_alu instid0(VALU_DEP_2)
	s_and_saveexec_b32 s0, s2
	s_cbranch_execz .LBB62_22
; %bb.21:                               ;   in Loop: Header=BB62_6 Depth=1
	s_waitcnt lgkmcnt(0)
	v_dual_mov_b32 v12, v14 :: v_dual_mov_b32 v11, v13
.LBB62_22:                              ;   in Loop: Header=BB62_6 Depth=1
	s_or_b32 exec_lo, exec_lo, s0
	s_waitcnt lgkmcnt(0)
	ds_bpermute_b32 v13, v7, v12
	ds_bpermute_b32 v14, v7, v11
	s_mov_b32 s3, exec_lo
	s_waitcnt lgkmcnt(1)
	v_cmp_lt_f32_e64 s2, v12, v13
	v_cmpx_nlt_f32_e32 v12, v13
	s_cbranch_execnz .LBB62_28
; %bb.23:                               ;   in Loop: Header=BB62_6 Depth=1
	s_or_b32 exec_lo, exec_lo, s3
	s_delay_alu instid0(VALU_DEP_2)
	s_and_saveexec_b32 s0, s2
	s_cbranch_execnz .LBB62_29
.LBB62_24:                              ;   in Loop: Header=BB62_6 Depth=1
	s_or_b32 exec_lo, exec_lo, s0
	s_and_saveexec_b32 s2, vcc_lo
	s_cbranch_execz .LBB62_26
.LBB62_25:                              ;   in Loop: Header=BB62_6 Depth=1
	v_add_nc_u32_e32 v13, s7, v8
	v_subrev_nc_u32_e32 v17, s5, v11
	v_cmp_le_i32_e64 s0, s5, v11
	v_cmp_gt_i32_e64 s1, s6, v11
	s_waitcnt lgkmcnt(0)
	v_ashrrev_i32_e32 v14, 31, v13
	v_ashrrev_i32_e32 v18, 31, v17
	s_delay_alu instid0(VALU_DEP_3) | instskip(NEXT) | instid1(SALU_CYCLE_1)
	s_and_b32 s0, s0, s1
	s_and_b32 s0, s15, s0
	s_delay_alu instid0(VALU_DEP_2) | instskip(SKIP_3) | instid1(VALU_DEP_4)
	v_lshlrev_b64 v[15:16], 2, v[13:14]
	v_lshlrev_b64 v[13:14], 3, v[13:14]
	v_cndmask_b32_e64 v18, 0, v18, s0
	v_cndmask_b32_e64 v17, 0x100, v17, s0
	v_add_co_u32 v19, s0, s12, v15
	s_delay_alu instid0(VALU_DEP_1) | instskip(SKIP_1) | instid1(VALU_DEP_1)
	v_add_co_ci_u32_e64 v20, s0, s13, v16, s0
	v_add_co_u32 v13, s0, s8, v13
	v_add_co_ci_u32_e64 v14, s0, s9, v14, s0
	v_add_co_u32 v15, s0, s10, v15
	s_delay_alu instid0(VALU_DEP_1)
	v_add_co_ci_u32_e64 v16, s0, s11, v16, s0
	global_store_b32 v[19:20], v12, off
	global_store_b64 v[13:14], v[17:18], off
	global_store_b32 v[15:16], v1, off
.LBB62_26:                              ;   in Loop: Header=BB62_6 Depth=1
	s_or_b32 exec_lo, exec_lo, s2
	v_ashrrev_i32_e32 v12, 31, v11
	s_add_i32 s7, s7, 1
	s_delay_alu instid0(SALU_CYCLE_1) | instskip(SKIP_1) | instid1(VALU_DEP_1)
	s_cmp_lt_i32 s7, s4
	s_cselect_b32 s1, -1, 0
	v_lshrrev_b32_e32 v13, 30, v12
	s_delay_alu instid0(VALU_DEP_1) | instskip(SKIP_1) | instid1(VALU_DEP_1)
	v_add_nc_u32_e32 v13, v11, v13
	s_waitcnt lgkmcnt(0)
	v_ashrrev_i32_e32 v14, 31, v13
	v_ashrrev_i32_e32 v13, 2, v13
	s_delay_alu instid0(VALU_DEP_2) | instskip(NEXT) | instid1(VALU_DEP_1)
	v_lshrrev_b32_e32 v14, 27, v14
	v_add_nc_u32_e32 v14, v13, v14
	s_delay_alu instid0(VALU_DEP_1) | instskip(NEXT) | instid1(VALU_DEP_1)
	v_and_b32_e32 v14, 0xffffffe0, v14
	v_sub_nc_u32_e32 v14, v13, v14
	s_delay_alu instid0(VALU_DEP_1) | instskip(NEXT) | instid1(VALU_DEP_1)
	v_cmp_eq_u32_e64 s0, v2, v14
	s_and_b32 s1, s1, s0
	s_delay_alu instid0(SALU_CYCLE_1)
	s_and_saveexec_b32 s0, s1
	s_cbranch_execz .LBB62_5
; %bb.27:                               ;   in Loop: Header=BB62_6 Depth=1
	v_lshrrev_b32_e32 v12, 25, v12
	v_lshlrev_b32_e32 v13, 2, v13
	s_delay_alu instid0(VALU_DEP_2) | instskip(NEXT) | instid1(VALU_DEP_2)
	v_add_nc_u32_e32 v12, v11, v12
	v_sub_nc_u32_e32 v11, v11, v13
	s_delay_alu instid0(VALU_DEP_2) | instskip(NEXT) | instid1(VALU_DEP_1)
	v_ashrrev_i32_e32 v12, 7, v12
	v_lshl_add_u32 v11, v12, 2, v11
	s_delay_alu instid0(VALU_DEP_1)
	v_lshl_add_u32 v11, v11, 2, v0
	ds_store_b32 v11, v10
	s_branch .LBB62_5
.LBB62_28:                              ;   in Loop: Header=BB62_6 Depth=1
	v_cmp_eq_f32_e64 s0, v12, v13
	s_waitcnt lgkmcnt(0)
	v_cmp_lt_i32_e64 s1, v14, v11
	s_delay_alu instid0(VALU_DEP_1) | instskip(SKIP_2) | instid1(SALU_CYCLE_1)
	s_and_b32 s0, s0, s1
	s_and_not1_b32 s1, s2, exec_lo
	s_and_b32 s0, s0, exec_lo
	s_or_b32 s2, s1, s0
	s_or_b32 exec_lo, exec_lo, s3
	s_and_saveexec_b32 s0, s2
	s_cbranch_execz .LBB62_24
.LBB62_29:                              ;   in Loop: Header=BB62_6 Depth=1
	s_waitcnt lgkmcnt(0)
	v_dual_mov_b32 v12, v13 :: v_dual_mov_b32 v11, v14
	s_or_b32 exec_lo, exec_lo, s0
	s_and_saveexec_b32 s2, vcc_lo
	s_cbranch_execnz .LBB62_25
	s_branch .LBB62_26
.LBB62_30:
	s_nop 0
	s_sendmsg sendmsg(MSG_DEALLOC_VGPRS)
	s_endpgm
	.section	.rodata,"a",@progbits
	.p2align	6, 0x0
	.amdhsa_kernel _ZN4vllm3moe17topkGatingSoftmaxILi8ELi256ELi4ELi16ELi32ElEEvPKfPKbPfiPT4_Piiii
		.amdhsa_group_segment_fixed_size 4096
		.amdhsa_private_segment_fixed_size 0
		.amdhsa_kernarg_size 60
		.amdhsa_user_sgpr_count 15
		.amdhsa_user_sgpr_dispatch_ptr 1
		.amdhsa_user_sgpr_queue_ptr 0
		.amdhsa_user_sgpr_kernarg_segment_ptr 1
		.amdhsa_user_sgpr_dispatch_id 0
		.amdhsa_user_sgpr_private_segment_size 0
		.amdhsa_wavefront_size32 1
		.amdhsa_uses_dynamic_stack 0
		.amdhsa_enable_private_segment 0
		.amdhsa_system_sgpr_workgroup_id_x 1
		.amdhsa_system_sgpr_workgroup_id_y 0
		.amdhsa_system_sgpr_workgroup_id_z 0
		.amdhsa_system_sgpr_workgroup_info 0
		.amdhsa_system_vgpr_workitem_id 2
		.amdhsa_next_free_vgpr 42
		.amdhsa_next_free_sgpr 16
		.amdhsa_reserve_vcc 1
		.amdhsa_float_round_mode_32 0
		.amdhsa_float_round_mode_16_64 0
		.amdhsa_float_denorm_mode_32 3
		.amdhsa_float_denorm_mode_16_64 3
		.amdhsa_dx10_clamp 1
		.amdhsa_ieee_mode 1
		.amdhsa_fp16_overflow 0
		.amdhsa_workgroup_processor_mode 1
		.amdhsa_memory_ordered 1
		.amdhsa_forward_progress 0
		.amdhsa_shared_vgpr_count 0
		.amdhsa_exception_fp_ieee_invalid_op 0
		.amdhsa_exception_fp_denorm_src 0
		.amdhsa_exception_fp_ieee_div_zero 0
		.amdhsa_exception_fp_ieee_overflow 0
		.amdhsa_exception_fp_ieee_underflow 0
		.amdhsa_exception_fp_ieee_inexact 0
		.amdhsa_exception_int_div_zero 0
	.end_amdhsa_kernel
	.section	.text._ZN4vllm3moe17topkGatingSoftmaxILi8ELi256ELi4ELi16ELi32ElEEvPKfPKbPfiPT4_Piiii,"axG",@progbits,_ZN4vllm3moe17topkGatingSoftmaxILi8ELi256ELi4ELi16ELi32ElEEvPKfPKbPfiPT4_Piiii,comdat
.Lfunc_end62:
	.size	_ZN4vllm3moe17topkGatingSoftmaxILi8ELi256ELi4ELi16ELi32ElEEvPKfPKbPfiPT4_Piiii, .Lfunc_end62-_ZN4vllm3moe17topkGatingSoftmaxILi8ELi256ELi4ELi16ELi32ElEEvPKfPKbPfiPT4_Piiii
                                        ; -- End function
	.section	.AMDGPU.csdata,"",@progbits
; Kernel info:
; codeLenInByte = 2840
; NumSgprs: 18
; NumVgprs: 42
; ScratchSize: 0
; MemoryBound: 0
; FloatMode: 240
; IeeeMode: 1
; LDSByteSize: 4096 bytes/workgroup (compile time only)
; SGPRBlocks: 2
; VGPRBlocks: 5
; NumSGPRsForWavesPerEU: 18
; NumVGPRsForWavesPerEU: 42
; Occupancy: 16
; WaveLimiterHint : 0
; COMPUTE_PGM_RSRC2:SCRATCH_EN: 0
; COMPUTE_PGM_RSRC2:USER_SGPR: 15
; COMPUTE_PGM_RSRC2:TRAP_HANDLER: 0
; COMPUTE_PGM_RSRC2:TGID_X_EN: 1
; COMPUTE_PGM_RSRC2:TGID_Y_EN: 0
; COMPUTE_PGM_RSRC2:TGID_Z_EN: 0
; COMPUTE_PGM_RSRC2:TIDIG_COMP_CNT: 2
	.section	.text._ZN4vllm3moe17topkGatingSoftmaxILi8ELi512ELi4ELi16ELi64ElEEvPKfPKbPfiPT4_Piiii,"axG",@progbits,_ZN4vllm3moe17topkGatingSoftmaxILi8ELi512ELi4ELi16ELi64ElEEvPKfPKbPfiPT4_Piiii,comdat
	.protected	_ZN4vllm3moe17topkGatingSoftmaxILi8ELi512ELi4ELi16ELi64ElEEvPKfPKbPfiPT4_Piiii ; -- Begin function _ZN4vllm3moe17topkGatingSoftmaxILi8ELi512ELi4ELi16ELi64ElEEvPKfPKbPfiPT4_Piiii
	.globl	_ZN4vllm3moe17topkGatingSoftmaxILi8ELi512ELi4ELi16ELi64ElEEvPKfPKbPfiPT4_Piiii
	.p2align	8
	.type	_ZN4vllm3moe17topkGatingSoftmaxILi8ELi512ELi4ELi16ELi64ElEEvPKfPKbPfiPT4_Piiii,@function
_ZN4vllm3moe17topkGatingSoftmaxILi8ELi512ELi4ELi16ELi64ElEEvPKfPKbPfiPT4_Piiii: ; @_ZN4vllm3moe17topkGatingSoftmaxILi8ELi512ELi4ELi16ELi64ElEEvPKfPKbPfiPT4_Piiii
; %bb.0:
	s_load_b32 s14, s[2:3], 0x18
	v_and_b32_e32 v10, 0x3ff, v0
	v_bfe_u32 v9, v0, 10, 10
	s_lshl_b32 s4, s15, 2
	s_delay_alu instid0(VALU_DEP_2) | instskip(NEXT) | instid1(VALU_DEP_1)
	v_lshrrev_b32_e32 v1, 6, v10
	v_add3_u32 v1, s4, v9, v1
	s_mov_b32 s4, exec_lo
	s_waitcnt lgkmcnt(0)
	s_delay_alu instid0(VALU_DEP_1)
	v_cmpx_gt_i32_e64 s14, v1
	s_cbranch_execz .LBB63_34
; %bb.1:
	s_clause 0x1
	s_load_b128 s[4:7], s[2:3], 0x0
	s_load_b64 s[12:13], s[2:3], 0x10
	s_mov_b32 s15, -1
	s_waitcnt lgkmcnt(0)
	s_cmp_eq_u64 s[6:7], 0
	s_cbranch_scc1 .LBB63_3
; %bb.2:
	v_ashrrev_i32_e32 v3, 31, v1
	v_add_co_u32 v2, vcc_lo, s6, v1
	s_delay_alu instid0(VALU_DEP_2) | instskip(SKIP_3) | instid1(VALU_DEP_1)
	v_add_co_ci_u32_e32 v3, vcc_lo, s7, v3, vcc_lo
	global_load_u8 v2, v[2:3], off
	s_waitcnt vmcnt(0)
	v_and_b32_e32 v2, 1, v2
	v_cmp_eq_u32_e32 vcc_lo, 1, v2
	s_xor_b32 s6, vcc_lo, -1
	s_delay_alu instid0(SALU_CYCLE_1)
	s_or_not1_b32 s15, s6, exec_lo
.LBB63_3:
	v_lshlrev_b32_e32 v3, 9, v1
	v_and_b32_e32 v2, 63, v10
	v_mbcnt_lo_u32_b32 v8, -1, 0
	s_load_b64 s[0:1], s[0:1], 0x4
	v_bfe_u32 v0, v0, 20, 10
	v_ashrrev_i32_e32 v4, 31, v3
	v_lshlrev_b32_e32 v5, 4, v2
	v_xor_b32_e32 v6, 16, v8
	s_delay_alu instid0(VALU_DEP_3) | instskip(NEXT) | instid1(VALU_DEP_1)
	v_lshlrev_b64 v[3:4], 2, v[3:4]
	v_add_co_u32 v3, vcc_lo, s4, v3
	s_delay_alu instid0(VALU_DEP_2) | instskip(SKIP_1) | instid1(VALU_DEP_2)
	v_add_co_ci_u32_e32 v4, vcc_lo, s5, v4, vcc_lo
	s_load_b128 s[4:7], s[2:3], 0x30
	v_add_co_u32 v3, vcc_lo, v3, v5
	s_delay_alu instid0(VALU_DEP_2)
	v_add_co_ci_u32_e32 v4, vcc_lo, 0, v4, vcc_lo
	s_waitcnt lgkmcnt(0)
	s_lshr_b32 s0, s0, 16
	s_mov_b32 s7, 0
	s_mul_i32 s0, s0, s1
	s_clause 0x1
	global_load_b128 v[11:14], v[3:4], off
	global_load_b128 v[15:18], v[3:4], off offset:1024
	v_mul_lo_u32 v10, s0, v10
	s_delay_alu instid0(VALU_DEP_1) | instskip(SKIP_1) | instid1(VALU_DEP_1)
	v_mad_u32_u24 v9, v9, s1, v10
	s_cmp_lt_i32 s4, 1
	v_add_lshl_u32 v0, v9, v0, 5
	s_waitcnt vmcnt(1)
	v_dual_max_f32 v3, v12, v12 :: v_dual_max_f32 v4, v11, v11
	s_delay_alu instid0(VALU_DEP_1) | instskip(SKIP_1) | instid1(VALU_DEP_2)
	v_max_f32_e32 v3, v4, v3
	v_or_b32_e32 v4, 32, v8
	v_max3_f32 v3, v3, v13, v14
	s_delay_alu instid0(VALU_DEP_2) | instskip(SKIP_1) | instid1(VALU_DEP_2)
	v_cmp_gt_i32_e32 vcc_lo, 64, v4
	s_waitcnt vmcnt(0)
	v_max3_f32 v5, v3, v15, v16
	v_cndmask_b32_e32 v4, v8, v4, vcc_lo
	v_cmp_gt_i32_e32 vcc_lo, 64, v6
	s_delay_alu instid0(VALU_DEP_3) | instskip(NEXT) | instid1(VALU_DEP_3)
	v_max3_f32 v5, v5, v17, v18
	v_dual_cndmask_b32 v6, v8, v6 :: v_dual_lshlrev_b32 v3, 2, v4
	ds_bpermute_b32 v4, v3, v5
	s_waitcnt lgkmcnt(0)
	v_dual_max_f32 v7, v4, v4 :: v_dual_lshlrev_b32 v4, 2, v6
	s_delay_alu instid0(VALU_DEP_1)
	v_max_f32_e32 v6, v5, v7
	v_xor_b32_e32 v7, 8, v8
	ds_bpermute_b32 v5, v4, v6
	v_cmp_gt_i32_e32 vcc_lo, 64, v7
	v_cndmask_b32_e32 v7, v8, v7, vcc_lo
	s_waitcnt lgkmcnt(0)
	v_max_f32_e32 v19, v5, v5
	s_delay_alu instid0(VALU_DEP_2) | instskip(NEXT) | instid1(VALU_DEP_2)
	v_lshlrev_b32_e32 v5, 2, v7
	v_max_f32_e32 v7, v6, v19
	v_xor_b32_e32 v19, 4, v8
	ds_bpermute_b32 v6, v5, v7
	v_cmp_gt_i32_e32 vcc_lo, 64, v19
	s_waitcnt lgkmcnt(0)
	v_dual_cndmask_b32 v19, v8, v19 :: v_dual_max_f32 v20, v6, v6
	s_delay_alu instid0(VALU_DEP_1)
	v_dual_max_f32 v19, v7, v20 :: v_dual_lshlrev_b32 v6, 2, v19
	v_xor_b32_e32 v20, 2, v8
	ds_bpermute_b32 v7, v6, v19
	v_cmp_gt_i32_e32 vcc_lo, 64, v20
	s_waitcnt lgkmcnt(0)
	v_dual_cndmask_b32 v20, v8, v20 :: v_dual_max_f32 v21, v7, v7
	s_delay_alu instid0(VALU_DEP_1) | instskip(NEXT) | instid1(VALU_DEP_2)
	v_lshlrev_b32_e32 v7, 2, v20
	v_max_f32_e32 v19, v19, v21
	v_xor_b32_e32 v21, 1, v8
	ds_bpermute_b32 v20, v7, v19
	v_cmp_gt_i32_e32 vcc_lo, 64, v21
	v_cndmask_b32_e32 v8, v8, v21, vcc_lo
	s_delay_alu instid0(VALU_DEP_1) | instskip(SKIP_2) | instid1(VALU_DEP_1)
	v_lshlrev_b32_e32 v8, 2, v8
	s_waitcnt lgkmcnt(0)
	v_max_f32_e32 v20, v20, v20
	v_max_f32_e32 v19, v19, v20
	ds_bpermute_b32 v20, v8, v19
	s_waitcnt lgkmcnt(0)
	v_max_f32_e32 v20, v20, v20
	s_delay_alu instid0(VALU_DEP_1) | instskip(NEXT) | instid1(VALU_DEP_1)
	v_max_f32_e32 v19, v19, v20
	v_sub_f32_e32 v18, v18, v19
	s_delay_alu instid0(VALU_DEP_1) | instskip(SKIP_3) | instid1(VALU_DEP_4)
	v_mul_f32_e32 v26, 0x3fb8aa3b, v18
	v_sub_f32_e32 v12, v12, v19
	v_sub_f32_e32 v17, v17, v19
	;; [unrolled: 1-line block ×3, first 2 shown]
	v_rndne_f32_e32 v42, v26
	s_delay_alu instid0(VALU_DEP_3) | instskip(NEXT) | instid1(VALU_DEP_3)
	v_dual_mul_f32 v20, 0x3fb8aa3b, v12 :: v_dual_mul_f32 v25, 0x3fb8aa3b, v17
	v_dual_sub_f32 v11, v11, v19 :: v_dual_mul_f32 v24, 0x3fb8aa3b, v16
	s_delay_alu instid0(VALU_DEP_2) | instskip(SKIP_2) | instid1(VALU_DEP_4)
	v_rndne_f32_e32 v30, v20
	v_sub_f32_e32 v13, v13, v19
	v_fma_f32 v29, 0x3fb8aa3b, v12, -v20
	v_fma_f32 v37, 0x3fb8aa3b, v16, -v24
	v_rndne_f32_e32 v38, v24
	v_sub_f32_e32 v20, v20, v30
	v_dual_sub_f32 v14, v14, v19 :: v_dual_mul_f32 v21, 0x3fb8aa3b, v13
	s_delay_alu instid0(VALU_DEP_3) | instskip(SKIP_1) | instid1(VALU_DEP_3)
	v_dual_fmac_f32 v37, 0x32a5705f, v16 :: v_dual_sub_f32 v24, v24, v38
	v_fmac_f32_e32 v29, 0x32a5705f, v12
	v_mul_f32_e32 v22, 0x3fb8aa3b, v14
	s_delay_alu instid0(VALU_DEP_4)
	v_fma_f32 v31, 0x3fb8aa3b, v13, -v21
	v_rndne_f32_e32 v32, v21
	v_add_f32_e32 v24, v24, v37
	v_cvt_i32_f32_e32 v30, v30
	v_rndne_f32_e32 v34, v22
	v_sub_f32_e32 v15, v15, v19
	v_mul_f32_e32 v19, 0x3fb8aa3b, v11
	v_fma_f32 v33, 0x3fb8aa3b, v14, -v22
	v_add_f32_e32 v20, v20, v29
	s_delay_alu instid0(VALU_DEP_4) | instskip(NEXT) | instid1(VALU_DEP_4)
	v_dual_sub_f32 v22, v22, v34 :: v_dual_mul_f32 v23, 0x3fb8aa3b, v15
	v_fma_f32 v27, 0x3fb8aa3b, v11, -v19
	v_rndne_f32_e32 v28, v19
	v_fmac_f32_e32 v33, 0x32a5705f, v14
	v_exp_f32_e32 v20, v20
	v_cmp_ngt_f32_e32 vcc_lo, 0xc2ce8ed0, v11
	v_fmac_f32_e32 v27, 0x32a5705f, v11
	s_delay_alu instid0(VALU_DEP_3) | instskip(SKIP_2) | instid1(VALU_DEP_3)
	v_dual_sub_f32 v19, v19, v28 :: v_dual_add_f32 v22, v22, v33
	v_cvt_i32_f32_e32 v28, v28
	v_fma_f32 v41, 0x3fb8aa3b, v18, -v26
	v_dual_sub_f32 v26, v26, v42 :: v_dual_add_f32 v19, v19, v27
	s_delay_alu instid0(VALU_DEP_4) | instskip(NEXT) | instid1(TRANS32_DEP_2)
	v_exp_f32_e32 v22, v22
	v_ldexp_f32 v20, v20, v30
	s_delay_alu instid0(VALU_DEP_3)
	v_fmac_f32_e32 v41, 0x32a5705f, v18
	v_sub_f32_e32 v21, v21, v32
	v_exp_f32_e32 v19, v19
	v_cvt_i32_f32_e32 v32, v32
	v_cvt_i32_f32_e32 v34, v34
	v_add_f32_e32 v26, v26, v41
	v_exp_f32_e32 v24, v24
	v_fma_f32 v35, 0x3fb8aa3b, v15, -v23
	v_rndne_f32_e32 v36, v23
	v_cvt_i32_f32_e32 v38, v38
	v_ldexp_f32 v22, v22, v34
	v_fma_f32 v39, 0x3fb8aa3b, v17, -v25
	v_ldexp_f32 v19, v19, v28
	v_rndne_f32_e32 v40, v25
	v_exp_f32_e32 v26, v26
	v_cvt_i32_f32_e32 v29, v42
	v_ldexp_f32 v24, v24, v38
	v_cndmask_b32_e32 v19, 0, v19, vcc_lo
	v_cmp_ngt_f32_e32 vcc_lo, 0xc2ce8ed0, v12
	v_fmac_f32_e32 v31, 0x32a5705f, v13
	v_fmac_f32_e32 v35, 0x32a5705f, v15
	v_sub_f32_e32 v25, v25, v40
	v_cvt_i32_f32_e32 v27, v40
	s_delay_alu instid0(VALU_DEP_4) | instskip(SKIP_2) | instid1(VALU_DEP_3)
	v_dual_cndmask_b32 v20, 0, v20 :: v_dual_add_f32 v21, v21, v31
	v_cmp_ngt_f32_e32 vcc_lo, 0xc2ce8ed0, v13
	v_ldexp_f32 v26, v26, v29
	v_exp_f32_e32 v21, v21
	s_waitcnt_depctr 0xfff
	v_ldexp_f32 v21, v21, v32
	s_delay_alu instid0(VALU_DEP_1)
	v_cndmask_b32_e32 v21, 0, v21, vcc_lo
	v_cmp_nlt_f32_e32 vcc_lo, 0x42b17218, v11
	v_cndmask_b32_e32 v11, 0x7f800000, v19, vcc_lo
	v_cmp_nlt_f32_e32 vcc_lo, 0x42b17218, v12
	v_cndmask_b32_e32 v12, 0x7f800000, v20, vcc_lo
	v_cmp_ngt_f32_e32 vcc_lo, 0xc2ce8ed0, v14
	s_delay_alu instid0(VALU_DEP_2) | instskip(SKIP_4) | instid1(VALU_DEP_3)
	v_dual_fmac_f32 v39, 0x32a5705f, v17 :: v_dual_add_f32 v20, v11, v12
	v_cndmask_b32_e32 v19, 0, v22, vcc_lo
	v_sub_f32_e32 v23, v23, v36
	v_cvt_i32_f32_e32 v36, v36
	v_cmp_nlt_f32_e32 vcc_lo, 0x42b17218, v13
	v_add_f32_e32 v23, v23, v35
	v_cndmask_b32_e32 v13, 0x7f800000, v21, vcc_lo
	v_cmp_ngt_f32_e32 vcc_lo, 0xc2ce8ed0, v15
	s_delay_alu instid0(VALU_DEP_3) | instskip(SKIP_2) | instid1(VALU_DEP_1)
	v_exp_f32_e32 v23, v23
	s_waitcnt_depctr 0xfff
	v_ldexp_f32 v23, v23, v36
	v_cndmask_b32_e32 v21, 0, v23, vcc_lo
	v_cmp_nlt_f32_e32 vcc_lo, 0x42b17218, v14
	v_cndmask_b32_e32 v14, 0x7f800000, v19, vcc_lo
	v_add_f32_e32 v25, v25, v39
	v_cmp_ngt_f32_e32 vcc_lo, 0xc2ce8ed0, v16
	v_add_f32_e32 v19, v20, v13
	s_delay_alu instid0(VALU_DEP_3) | instskip(SKIP_2) | instid1(VALU_DEP_3)
	v_exp_f32_e32 v25, v25
	v_cndmask_b32_e32 v20, 0, v24, vcc_lo
	v_cmp_nlt_f32_e32 vcc_lo, 0x42b17218, v15
	v_add_f32_e32 v19, v19, v14
	v_cndmask_b32_e32 v15, 0x7f800000, v21, vcc_lo
	v_cmp_ngt_f32_e32 vcc_lo, 0xc2ce8ed0, v17
	s_waitcnt_depctr 0xfff
	v_ldexp_f32 v25, v25, v27
	v_add_f32_e32 v19, v19, v15
	s_delay_alu instid0(VALU_DEP_2) | instskip(SKIP_3) | instid1(VALU_DEP_2)
	v_cndmask_b32_e32 v21, 0, v25, vcc_lo
	v_cmp_nlt_f32_e32 vcc_lo, 0x42b17218, v16
	v_cndmask_b32_e32 v16, 0x7f800000, v20, vcc_lo
	v_cmp_ngt_f32_e32 vcc_lo, 0xc2ce8ed0, v18
	v_dual_add_f32 v19, v19, v16 :: v_dual_cndmask_b32 v20, 0, v26
	v_cmp_nlt_f32_e32 vcc_lo, 0x42b17218, v17
	v_cndmask_b32_e32 v17, 0x7f800000, v21, vcc_lo
	v_cmp_nlt_f32_e32 vcc_lo, 0x42b17218, v18
	s_delay_alu instid0(VALU_DEP_2) | instskip(NEXT) | instid1(VALU_DEP_1)
	v_dual_add_f32 v19, v19, v17 :: v_dual_cndmask_b32 v18, 0x7f800000, v20
	v_add_f32_e32 v19, v19, v18
	ds_bpermute_b32 v20, v3, v19
	s_waitcnt lgkmcnt(0)
	v_add_f32_e32 v19, v19, v20
	ds_bpermute_b32 v20, v4, v19
	s_waitcnt lgkmcnt(0)
	;; [unrolled: 3-line block ×6, first 2 shown]
	v_add_f32_e32 v19, v19, v20
	s_delay_alu instid0(VALU_DEP_1) | instskip(SKIP_1) | instid1(VALU_DEP_2)
	v_div_scale_f32 v20, null, v19, v19, 1.0
	v_div_scale_f32 v23, vcc_lo, 1.0, v19, 1.0
	v_rcp_f32_e32 v21, v20
	s_waitcnt_depctr 0xfff
	v_fma_f32 v22, -v20, v21, 1.0
	s_delay_alu instid0(VALU_DEP_1) | instskip(NEXT) | instid1(VALU_DEP_1)
	v_fmac_f32_e32 v21, v22, v21
	v_mul_f32_e32 v22, v23, v21
	s_delay_alu instid0(VALU_DEP_1) | instskip(NEXT) | instid1(VALU_DEP_1)
	v_fma_f32 v24, -v20, v22, v23
	v_fmac_f32_e32 v22, v24, v21
	s_delay_alu instid0(VALU_DEP_1) | instskip(NEXT) | instid1(VALU_DEP_1)
	v_fma_f32 v20, -v20, v22, v23
	v_div_fmas_f32 v20, v20, v21, v22
	s_delay_alu instid0(VALU_DEP_1) | instskip(NEXT) | instid1(VALU_DEP_1)
	v_div_fixup_f32 v19, v20, v19, 1.0
	v_mul_f32_e32 v10, v19, v12
	v_mul_f32_e32 v12, v19, v14
	;; [unrolled: 1-line block ×8, first 2 shown]
	ds_store_b128 v0, v[9:12]
	ds_store_b128 v0, v[13:16] offset:16
	s_cbranch_scc1 .LBB63_34
; %bb.4:
	s_load_b128 s[8:11], s[2:3], 0x20
	v_mul_lo_u32 v9, v1, s4
	v_dual_mov_b32 v11, 0xc61c4000 :: v_dual_lshlrev_b32 v10, 2, v2
	v_cmp_eq_u32_e32 vcc_lo, 0, v2
	s_branch .LBB63_6
.LBB63_5:                               ;   in Loop: Header=BB63_6 Depth=1
	s_or_b32 exec_lo, exec_lo, s0
	v_add_nc_u32_e32 v1, s14, v1
	s_cmp_lg_u32 s4, s7
	s_cbranch_scc0 .LBB63_34
.LBB63_6:                               ; =>This Inner Loop Header: Depth=1
	ds_load_b128 v[12:15], v0
	ds_load_b128 v[16:19], v0 offset:16
	s_mov_b32 s3, exec_lo
	s_waitcnt lgkmcnt(0)
	v_cmp_gt_f32_e64 s0, v13, v12
	s_delay_alu instid0(VALU_DEP_1) | instskip(SKIP_1) | instid1(VALU_DEP_2)
	v_cndmask_b32_e64 v12, v12, v13, s0
	v_cndmask_b32_e64 v13, 0, 1, s0
	v_cmp_gt_f32_e64 s0, v14, v12
	s_delay_alu instid0(VALU_DEP_1) | instskip(NEXT) | instid1(VALU_DEP_3)
	v_cndmask_b32_e64 v12, v12, v14, s0
	v_cndmask_b32_e64 v13, v13, 2, s0
	s_delay_alu instid0(VALU_DEP_2) | instskip(NEXT) | instid1(VALU_DEP_1)
	v_cmp_gt_f32_e64 s0, v15, v12
	v_cndmask_b32_e64 v12, v12, v15, s0
	s_delay_alu instid0(VALU_DEP_3) | instskip(NEXT) | instid1(VALU_DEP_2)
	v_cndmask_b32_e64 v13, v13, 3, s0
	v_cmp_gt_f32_e64 s0, v16, v12
	s_delay_alu instid0(VALU_DEP_1) | instskip(NEXT) | instid1(VALU_DEP_3)
	v_cndmask_b32_e64 v12, v12, v16, s0
	v_cndmask_b32_e64 v13, v13, 0x100, s0
	s_delay_alu instid0(VALU_DEP_2) | instskip(NEXT) | instid1(VALU_DEP_1)
	v_cmp_gt_f32_e64 s0, v17, v12
	v_cndmask_b32_e64 v12, v12, v17, s0
	s_delay_alu instid0(VALU_DEP_3) | instskip(NEXT) | instid1(VALU_DEP_2)
	v_cndmask_b32_e64 v13, v13, 0x101, s0
	v_cmp_gt_f32_e64 s0, v18, v12
	s_delay_alu instid0(VALU_DEP_1) | instskip(NEXT) | instid1(VALU_DEP_3)
	v_cndmask_b32_e64 v12, v12, v18, s0
	v_cndmask_b32_e64 v14, v13, 0x102, s0
	s_delay_alu instid0(VALU_DEP_2) | instskip(NEXT) | instid1(VALU_DEP_1)
	v_cmp_gt_f32_e64 s0, v19, v12
	v_cndmask_b32_e64 v13, v12, v19, s0
	s_delay_alu instid0(VALU_DEP_3)
	v_cndmask_b32_e64 v12, v14, 0x103, s0
	ds_bpermute_b32 v14, v3, v13
	v_or_b32_e32 v12, v10, v12
	ds_bpermute_b32 v15, v3, v12
	s_waitcnt lgkmcnt(1)
	v_cmp_lt_f32_e64 s2, v13, v14
	v_cmpx_nlt_f32_e32 v13, v14
	s_cbranch_execz .LBB63_8
; %bb.7:                                ;   in Loop: Header=BB63_6 Depth=1
	v_cmp_eq_f32_e64 s0, v13, v14
	s_waitcnt lgkmcnt(0)
	v_cmp_lt_i32_e64 s1, v15, v12
	s_delay_alu instid0(VALU_DEP_1) | instskip(SKIP_2) | instid1(SALU_CYCLE_1)
	s_and_b32 s0, s0, s1
	s_and_not1_b32 s1, s2, exec_lo
	s_and_b32 s0, s0, exec_lo
	s_or_b32 s2, s1, s0
.LBB63_8:                               ;   in Loop: Header=BB63_6 Depth=1
	s_or_b32 exec_lo, exec_lo, s3
	s_delay_alu instid0(VALU_DEP_2)
	s_and_saveexec_b32 s0, s2
	s_cbranch_execz .LBB63_10
; %bb.9:                                ;   in Loop: Header=BB63_6 Depth=1
	s_waitcnt lgkmcnt(0)
	v_dual_mov_b32 v13, v14 :: v_dual_mov_b32 v12, v15
.LBB63_10:                              ;   in Loop: Header=BB63_6 Depth=1
	s_or_b32 exec_lo, exec_lo, s0
	s_waitcnt lgkmcnt(0)
	ds_bpermute_b32 v15, v4, v13
	ds_bpermute_b32 v14, v4, v12
	s_mov_b32 s3, exec_lo
	s_waitcnt lgkmcnt(1)
	v_cmp_lt_f32_e64 s2, v13, v15
	v_cmpx_nlt_f32_e32 v13, v15
	s_cbranch_execz .LBB63_12
; %bb.11:                               ;   in Loop: Header=BB63_6 Depth=1
	v_cmp_eq_f32_e64 s0, v13, v15
	s_waitcnt lgkmcnt(0)
	v_cmp_lt_i32_e64 s1, v14, v12
	s_delay_alu instid0(VALU_DEP_1) | instskip(SKIP_2) | instid1(SALU_CYCLE_1)
	s_and_b32 s0, s0, s1
	s_and_not1_b32 s1, s2, exec_lo
	s_and_b32 s0, s0, exec_lo
	s_or_b32 s2, s1, s0
.LBB63_12:                              ;   in Loop: Header=BB63_6 Depth=1
	s_or_b32 exec_lo, exec_lo, s3
	s_delay_alu instid0(VALU_DEP_2)
	s_and_saveexec_b32 s0, s2
	s_cbranch_execz .LBB63_14
; %bb.13:                               ;   in Loop: Header=BB63_6 Depth=1
	s_waitcnt lgkmcnt(0)
	v_dual_mov_b32 v13, v15 :: v_dual_mov_b32 v12, v14
.LBB63_14:                              ;   in Loop: Header=BB63_6 Depth=1
	s_or_b32 exec_lo, exec_lo, s0
	ds_bpermute_b32 v15, v5, v13
	s_waitcnt lgkmcnt(1)
	ds_bpermute_b32 v14, v5, v12
	s_mov_b32 s3, exec_lo
	s_waitcnt lgkmcnt(1)
	v_cmp_lt_f32_e64 s2, v13, v15
	v_cmpx_nlt_f32_e32 v13, v15
	s_cbranch_execz .LBB63_16
; %bb.15:                               ;   in Loop: Header=BB63_6 Depth=1
	v_cmp_eq_f32_e64 s0, v13, v15
	s_waitcnt lgkmcnt(0)
	v_cmp_lt_i32_e64 s1, v14, v12
	s_delay_alu instid0(VALU_DEP_1) | instskip(SKIP_2) | instid1(SALU_CYCLE_1)
	s_and_b32 s0, s0, s1
	s_and_not1_b32 s1, s2, exec_lo
	s_and_b32 s0, s0, exec_lo
	s_or_b32 s2, s1, s0
.LBB63_16:                              ;   in Loop: Header=BB63_6 Depth=1
	s_or_b32 exec_lo, exec_lo, s3
	s_delay_alu instid0(VALU_DEP_2)
	s_and_saveexec_b32 s0, s2
	s_cbranch_execz .LBB63_18
; %bb.17:                               ;   in Loop: Header=BB63_6 Depth=1
	s_waitcnt lgkmcnt(0)
	v_dual_mov_b32 v13, v15 :: v_dual_mov_b32 v12, v14
.LBB63_18:                              ;   in Loop: Header=BB63_6 Depth=1
	s_or_b32 exec_lo, exec_lo, s0
	ds_bpermute_b32 v15, v6, v13
	s_waitcnt lgkmcnt(1)
	;; [unrolled: 27-line block ×3, first 2 shown]
	ds_bpermute_b32 v14, v7, v12
	s_mov_b32 s3, exec_lo
	s_waitcnt lgkmcnt(1)
	v_cmp_lt_f32_e64 s2, v13, v15
	v_cmpx_nlt_f32_e32 v13, v15
	s_cbranch_execz .LBB63_24
; %bb.23:                               ;   in Loop: Header=BB63_6 Depth=1
	v_cmp_eq_f32_e64 s0, v13, v15
	s_waitcnt lgkmcnt(0)
	v_cmp_lt_i32_e64 s1, v14, v12
	s_delay_alu instid0(VALU_DEP_1) | instskip(SKIP_2) | instid1(SALU_CYCLE_1)
	s_and_b32 s0, s0, s1
	s_and_not1_b32 s1, s2, exec_lo
	s_and_b32 s0, s0, exec_lo
	s_or_b32 s2, s1, s0
.LBB63_24:                              ;   in Loop: Header=BB63_6 Depth=1
	s_or_b32 exec_lo, exec_lo, s3
	s_delay_alu instid0(VALU_DEP_2)
	s_and_saveexec_b32 s0, s2
	s_cbranch_execz .LBB63_26
; %bb.25:                               ;   in Loop: Header=BB63_6 Depth=1
	s_waitcnt lgkmcnt(0)
	v_dual_mov_b32 v13, v15 :: v_dual_mov_b32 v12, v14
.LBB63_26:                              ;   in Loop: Header=BB63_6 Depth=1
	s_or_b32 exec_lo, exec_lo, s0
	s_waitcnt lgkmcnt(0)
	ds_bpermute_b32 v14, v8, v13
	ds_bpermute_b32 v15, v8, v12
	s_mov_b32 s3, exec_lo
	s_waitcnt lgkmcnt(1)
	v_cmp_lt_f32_e64 s2, v13, v14
	v_cmpx_nlt_f32_e32 v13, v14
	s_cbranch_execnz .LBB63_32
; %bb.27:                               ;   in Loop: Header=BB63_6 Depth=1
	s_or_b32 exec_lo, exec_lo, s3
	s_delay_alu instid0(VALU_DEP_2)
	s_and_saveexec_b32 s0, s2
	s_cbranch_execnz .LBB63_33
.LBB63_28:                              ;   in Loop: Header=BB63_6 Depth=1
	s_or_b32 exec_lo, exec_lo, s0
	s_and_saveexec_b32 s2, vcc_lo
	s_cbranch_execz .LBB63_30
.LBB63_29:                              ;   in Loop: Header=BB63_6 Depth=1
	v_add_nc_u32_e32 v14, s7, v9
	v_subrev_nc_u32_e32 v18, s5, v12
	v_cmp_le_i32_e64 s0, s5, v12
	v_cmp_gt_i32_e64 s1, s6, v12
	s_waitcnt lgkmcnt(0)
	v_ashrrev_i32_e32 v15, 31, v14
	v_ashrrev_i32_e32 v19, 31, v18
	s_delay_alu instid0(VALU_DEP_3) | instskip(NEXT) | instid1(SALU_CYCLE_1)
	s_and_b32 s0, s0, s1
	s_and_b32 s0, s15, s0
	s_delay_alu instid0(VALU_DEP_2) | instskip(SKIP_3) | instid1(VALU_DEP_4)
	v_lshlrev_b64 v[16:17], 2, v[14:15]
	v_lshlrev_b64 v[14:15], 3, v[14:15]
	v_cndmask_b32_e64 v19, 0, v19, s0
	v_cndmask_b32_e64 v18, 0x200, v18, s0
	v_add_co_u32 v20, s0, s12, v16
	s_delay_alu instid0(VALU_DEP_1) | instskip(SKIP_1) | instid1(VALU_DEP_1)
	v_add_co_ci_u32_e64 v21, s0, s13, v17, s0
	v_add_co_u32 v14, s0, s8, v14
	v_add_co_ci_u32_e64 v15, s0, s9, v15, s0
	v_add_co_u32 v16, s0, s10, v16
	s_delay_alu instid0(VALU_DEP_1)
	v_add_co_ci_u32_e64 v17, s0, s11, v17, s0
	global_store_b32 v[20:21], v13, off
	global_store_b64 v[14:15], v[18:19], off
	global_store_b32 v[16:17], v1, off
.LBB63_30:                              ;   in Loop: Header=BB63_6 Depth=1
	s_or_b32 exec_lo, exec_lo, s2
	v_ashrrev_i32_e32 v13, 31, v12
	s_add_i32 s7, s7, 1
	s_delay_alu instid0(SALU_CYCLE_1) | instskip(SKIP_1) | instid1(VALU_DEP_1)
	s_cmp_lt_i32 s7, s4
	s_cselect_b32 s1, -1, 0
	v_lshrrev_b32_e32 v14, 30, v13
	s_delay_alu instid0(VALU_DEP_1) | instskip(SKIP_1) | instid1(VALU_DEP_1)
	v_add_nc_u32_e32 v14, v12, v14
	s_waitcnt lgkmcnt(0)
	v_ashrrev_i32_e32 v15, 31, v14
	v_ashrrev_i32_e32 v14, 2, v14
	s_delay_alu instid0(VALU_DEP_2) | instskip(NEXT) | instid1(VALU_DEP_1)
	v_lshrrev_b32_e32 v15, 26, v15
	v_add_nc_u32_e32 v15, v14, v15
	s_delay_alu instid0(VALU_DEP_1) | instskip(NEXT) | instid1(VALU_DEP_1)
	v_and_b32_e32 v15, 0xffffffc0, v15
	v_sub_nc_u32_e32 v15, v14, v15
	s_delay_alu instid0(VALU_DEP_1) | instskip(NEXT) | instid1(VALU_DEP_1)
	v_cmp_eq_u32_e64 s0, v2, v15
	s_and_b32 s1, s1, s0
	s_delay_alu instid0(SALU_CYCLE_1)
	s_and_saveexec_b32 s0, s1
	s_cbranch_execz .LBB63_5
; %bb.31:                               ;   in Loop: Header=BB63_6 Depth=1
	v_lshrrev_b32_e32 v13, 24, v13
	v_lshlrev_b32_e32 v14, 2, v14
	s_delay_alu instid0(VALU_DEP_2) | instskip(NEXT) | instid1(VALU_DEP_2)
	v_add_nc_u32_e32 v13, v12, v13
	v_sub_nc_u32_e32 v12, v12, v14
	s_delay_alu instid0(VALU_DEP_2) | instskip(NEXT) | instid1(VALU_DEP_1)
	v_ashrrev_i32_e32 v13, 8, v13
	v_lshl_add_u32 v12, v13, 2, v12
	s_delay_alu instid0(VALU_DEP_1)
	v_lshl_add_u32 v12, v12, 2, v0
	ds_store_b32 v12, v11
	s_branch .LBB63_5
.LBB63_32:                              ;   in Loop: Header=BB63_6 Depth=1
	v_cmp_eq_f32_e64 s0, v13, v14
	s_waitcnt lgkmcnt(0)
	v_cmp_lt_i32_e64 s1, v15, v12
	s_delay_alu instid0(VALU_DEP_1) | instskip(SKIP_2) | instid1(SALU_CYCLE_1)
	s_and_b32 s0, s0, s1
	s_and_not1_b32 s1, s2, exec_lo
	s_and_b32 s0, s0, exec_lo
	s_or_b32 s2, s1, s0
	s_or_b32 exec_lo, exec_lo, s3
	s_and_saveexec_b32 s0, s2
	s_cbranch_execz .LBB63_28
.LBB63_33:                              ;   in Loop: Header=BB63_6 Depth=1
	s_waitcnt lgkmcnt(0)
	v_dual_mov_b32 v13, v14 :: v_dual_mov_b32 v12, v15
	s_or_b32 exec_lo, exec_lo, s0
	s_and_saveexec_b32 s2, vcc_lo
	s_cbranch_execnz .LBB63_29
	s_branch .LBB63_30
.LBB63_34:
	s_nop 0
	s_sendmsg sendmsg(MSG_DEALLOC_VGPRS)
	s_endpgm
	.section	.rodata,"a",@progbits
	.p2align	6, 0x0
	.amdhsa_kernel _ZN4vllm3moe17topkGatingSoftmaxILi8ELi512ELi4ELi16ELi64ElEEvPKfPKbPfiPT4_Piiii
		.amdhsa_group_segment_fixed_size 8192
		.amdhsa_private_segment_fixed_size 0
		.amdhsa_kernarg_size 60
		.amdhsa_user_sgpr_count 15
		.amdhsa_user_sgpr_dispatch_ptr 1
		.amdhsa_user_sgpr_queue_ptr 0
		.amdhsa_user_sgpr_kernarg_segment_ptr 1
		.amdhsa_user_sgpr_dispatch_id 0
		.amdhsa_user_sgpr_private_segment_size 0
		.amdhsa_wavefront_size32 1
		.amdhsa_uses_dynamic_stack 0
		.amdhsa_enable_private_segment 0
		.amdhsa_system_sgpr_workgroup_id_x 1
		.amdhsa_system_sgpr_workgroup_id_y 0
		.amdhsa_system_sgpr_workgroup_id_z 0
		.amdhsa_system_sgpr_workgroup_info 0
		.amdhsa_system_vgpr_workitem_id 2
		.amdhsa_next_free_vgpr 43
		.amdhsa_next_free_sgpr 16
		.amdhsa_reserve_vcc 1
		.amdhsa_float_round_mode_32 0
		.amdhsa_float_round_mode_16_64 0
		.amdhsa_float_denorm_mode_32 3
		.amdhsa_float_denorm_mode_16_64 3
		.amdhsa_dx10_clamp 1
		.amdhsa_ieee_mode 1
		.amdhsa_fp16_overflow 0
		.amdhsa_workgroup_processor_mode 1
		.amdhsa_memory_ordered 1
		.amdhsa_forward_progress 0
		.amdhsa_shared_vgpr_count 0
		.amdhsa_exception_fp_ieee_invalid_op 0
		.amdhsa_exception_fp_denorm_src 0
		.amdhsa_exception_fp_ieee_div_zero 0
		.amdhsa_exception_fp_ieee_overflow 0
		.amdhsa_exception_fp_ieee_underflow 0
		.amdhsa_exception_fp_ieee_inexact 0
		.amdhsa_exception_int_div_zero 0
	.end_amdhsa_kernel
	.section	.text._ZN4vllm3moe17topkGatingSoftmaxILi8ELi512ELi4ELi16ELi64ElEEvPKfPKbPfiPT4_Piiii,"axG",@progbits,_ZN4vllm3moe17topkGatingSoftmaxILi8ELi512ELi4ELi16ELi64ElEEvPKfPKbPfiPT4_Piiii,comdat
.Lfunc_end63:
	.size	_ZN4vllm3moe17topkGatingSoftmaxILi8ELi512ELi4ELi16ELi64ElEEvPKfPKbPfiPT4_Piiii, .Lfunc_end63-_ZN4vllm3moe17topkGatingSoftmaxILi8ELi512ELi4ELi16ELi64ElEEvPKfPKbPfiPT4_Piiii
                                        ; -- End function
	.section	.AMDGPU.csdata,"",@progbits
; Kernel info:
; codeLenInByte = 3032
; NumSgprs: 18
; NumVgprs: 43
; ScratchSize: 0
; MemoryBound: 0
; FloatMode: 240
; IeeeMode: 1
; LDSByteSize: 8192 bytes/workgroup (compile time only)
; SGPRBlocks: 2
; VGPRBlocks: 5
; NumSGPRsForWavesPerEU: 18
; NumVGPRsForWavesPerEU: 43
; Occupancy: 16
; WaveLimiterHint : 0
; COMPUTE_PGM_RSRC2:SCRATCH_EN: 0
; COMPUTE_PGM_RSRC2:USER_SGPR: 15
; COMPUTE_PGM_RSRC2:TRAP_HANDLER: 0
; COMPUTE_PGM_RSRC2:TGID_X_EN: 1
; COMPUTE_PGM_RSRC2:TGID_Y_EN: 0
; COMPUTE_PGM_RSRC2:TGID_Z_EN: 0
; COMPUTE_PGM_RSRC2:TIDIG_COMP_CNT: 2
	.section	.text._ZN4vllm3moe17topkGatingSoftmaxILi16ELi512ELi4ELi16ELi32ElEEvPKfPKbPfiPT4_Piiii,"axG",@progbits,_ZN4vllm3moe17topkGatingSoftmaxILi16ELi512ELi4ELi16ELi32ElEEvPKfPKbPfiPT4_Piiii,comdat
	.protected	_ZN4vllm3moe17topkGatingSoftmaxILi16ELi512ELi4ELi16ELi32ElEEvPKfPKbPfiPT4_Piiii ; -- Begin function _ZN4vllm3moe17topkGatingSoftmaxILi16ELi512ELi4ELi16ELi32ElEEvPKfPKbPfiPT4_Piiii
	.globl	_ZN4vllm3moe17topkGatingSoftmaxILi16ELi512ELi4ELi16ELi32ElEEvPKfPKbPfiPT4_Piiii
	.p2align	8
	.type	_ZN4vllm3moe17topkGatingSoftmaxILi16ELi512ELi4ELi16ELi32ElEEvPKfPKbPfiPT4_Piiii,@function
_ZN4vllm3moe17topkGatingSoftmaxILi16ELi512ELi4ELi16ELi32ElEEvPKfPKbPfiPT4_Piiii: ; @_ZN4vllm3moe17topkGatingSoftmaxILi16ELi512ELi4ELi16ELi32ElEEvPKfPKbPfiPT4_Piiii
; %bb.0:
	s_load_b32 s14, s[2:3], 0x18
	v_and_b32_e32 v8, 0x3ff, v0
	v_bfe_u32 v9, v0, 10, 10
	s_lshl_b32 s4, s15, 2
	s_delay_alu instid0(VALU_DEP_2) | instskip(NEXT) | instid1(VALU_DEP_1)
	v_lshrrev_b32_e32 v1, 5, v8
	v_add3_u32 v1, s4, v9, v1
	s_mov_b32 s4, exec_lo
	s_waitcnt lgkmcnt(0)
	s_delay_alu instid0(VALU_DEP_1)
	v_cmpx_gt_i32_e64 s14, v1
	s_cbranch_execz .LBB64_30
; %bb.1:
	s_clause 0x1
	s_load_b128 s[4:7], s[2:3], 0x0
	s_load_b64 s[12:13], s[2:3], 0x10
	s_mov_b32 s15, -1
	s_waitcnt lgkmcnt(0)
	s_cmp_eq_u64 s[6:7], 0
	s_cbranch_scc1 .LBB64_3
; %bb.2:
	v_ashrrev_i32_e32 v3, 31, v1
	v_add_co_u32 v2, vcc_lo, s6, v1
	s_delay_alu instid0(VALU_DEP_2) | instskip(SKIP_3) | instid1(VALU_DEP_1)
	v_add_co_ci_u32_e32 v3, vcc_lo, s7, v3, vcc_lo
	global_load_u8 v2, v[2:3], off
	s_waitcnt vmcnt(0)
	v_and_b32_e32 v2, 1, v2
	v_cmp_eq_u32_e32 vcc_lo, 1, v2
	s_xor_b32 s6, vcc_lo, -1
	s_delay_alu instid0(SALU_CYCLE_1)
	s_or_not1_b32 s15, s6, exec_lo
.LBB64_3:
	v_lshlrev_b32_e32 v3, 9, v1
	v_and_b32_e32 v2, 31, v8
	v_mbcnt_lo_u32_b32 v7, -1, 0
	s_load_b64 s[0:1], s[0:1], 0x4
	v_bfe_u32 v0, v0, 20, 10
	v_ashrrev_i32_e32 v4, 31, v3
	v_lshlrev_b32_e32 v5, 4, v2
	v_xor_b32_e32 v6, 8, v7
	s_delay_alu instid0(VALU_DEP_3) | instskip(NEXT) | instid1(VALU_DEP_1)
	v_lshlrev_b64 v[3:4], 2, v[3:4]
	v_add_co_u32 v3, vcc_lo, s4, v3
	s_delay_alu instid0(VALU_DEP_2) | instskip(SKIP_1) | instid1(VALU_DEP_2)
	v_add_co_ci_u32_e32 v4, vcc_lo, s5, v4, vcc_lo
	s_load_b128 s[4:7], s[2:3], 0x30
	v_add_co_u32 v3, vcc_lo, v3, v5
	s_delay_alu instid0(VALU_DEP_2)
	v_add_co_ci_u32_e32 v4, vcc_lo, 0, v4, vcc_lo
	s_waitcnt lgkmcnt(0)
	v_mul_u32_u24_e32 v9, s1, v9
	s_lshr_b32 s0, s0, 16
	s_mov_b32 s7, 0
	s_clause 0x3
	global_load_b128 v[10:13], v[3:4], off
	global_load_b128 v[14:17], v[3:4], off offset:512
	global_load_b128 v[18:21], v[3:4], off offset:1024
	;; [unrolled: 1-line block ×3, first 2 shown]
	s_mul_i32 s0, s0, s1
	s_delay_alu instid0(SALU_CYCLE_1) | instskip(NEXT) | instid1(VALU_DEP_1)
	v_mad_u32_u24 v8, s0, v8, v9
	v_add_lshl_u32 v0, v8, v0, 6
	s_cmp_lt_i32 s4, 1
	s_waitcnt vmcnt(3)
	v_dual_max_f32 v3, v11, v11 :: v_dual_max_f32 v4, v10, v10
	s_delay_alu instid0(VALU_DEP_1) | instskip(SKIP_1) | instid1(VALU_DEP_1)
	v_max_f32_e32 v3, v4, v3
	v_xor_b32_e32 v4, 16, v7
	v_cmp_gt_i32_e32 vcc_lo, 32, v4
	v_cndmask_b32_e32 v4, v7, v4, vcc_lo
	v_cmp_gt_i32_e32 vcc_lo, 32, v6
	v_cndmask_b32_e32 v6, v7, v6, vcc_lo
	v_max3_f32 v3, v3, v12, v13
	s_waitcnt vmcnt(2)
	s_delay_alu instid0(VALU_DEP_1) | instskip(NEXT) | instid1(VALU_DEP_1)
	v_max3_f32 v3, v3, v14, v15
	v_max3_f32 v3, v3, v16, v17
	s_waitcnt vmcnt(1)
	s_delay_alu instid0(VALU_DEP_1) | instskip(NEXT) | instid1(VALU_DEP_1)
	v_max3_f32 v3, v3, v18, v19
	;; [unrolled: 4-line block ×3, first 2 shown]
	v_max3_f32 v5, v5, v24, v25
	v_lshlrev_b32_e32 v3, 2, v4
	ds_bpermute_b32 v4, v3, v5
	s_waitcnt lgkmcnt(0)
	v_max_f32_e32 v26, v4, v4
	v_lshlrev_b32_e32 v4, 2, v6
	s_delay_alu instid0(VALU_DEP_2)
	v_max_f32_e32 v6, v5, v26
	v_xor_b32_e32 v26, 4, v7
	ds_bpermute_b32 v5, v4, v6
	v_cmp_gt_i32_e32 vcc_lo, 32, v26
	s_waitcnt lgkmcnt(0)
	v_dual_cndmask_b32 v26, v7, v26 :: v_dual_max_f32 v27, v5, v5
	s_delay_alu instid0(VALU_DEP_1)
	v_dual_max_f32 v26, v6, v27 :: v_dual_lshlrev_b32 v5, 2, v26
	v_xor_b32_e32 v27, 2, v7
	ds_bpermute_b32 v6, v5, v26
	v_cmp_gt_i32_e32 vcc_lo, 32, v27
	s_waitcnt lgkmcnt(0)
	v_dual_cndmask_b32 v27, v7, v27 :: v_dual_max_f32 v28, v6, v6
	s_delay_alu instid0(VALU_DEP_1) | instskip(SKIP_1) | instid1(VALU_DEP_1)
	v_max_f32_e32 v26, v26, v28
	v_xor_b32_e32 v28, 1, v7
	v_cmp_gt_i32_e32 vcc_lo, 32, v28
	s_delay_alu instid0(VALU_DEP_4) | instskip(SKIP_4) | instid1(VALU_DEP_1)
	v_dual_cndmask_b32 v7, v7, v28 :: v_dual_lshlrev_b32 v6, 2, v27
	ds_bpermute_b32 v27, v6, v26
	v_lshlrev_b32_e32 v7, 2, v7
	s_waitcnt lgkmcnt(0)
	v_max_f32_e32 v27, v27, v27
	v_max_f32_e32 v26, v26, v27
	ds_bpermute_b32 v27, v7, v26
	s_waitcnt lgkmcnt(0)
	v_max_f32_e32 v27, v27, v27
	s_delay_alu instid0(VALU_DEP_1) | instskip(NEXT) | instid1(VALU_DEP_1)
	v_max_f32_e32 v26, v26, v27
	v_sub_f32_e32 v17, v17, v26
	s_delay_alu instid0(VALU_DEP_1)
	v_mul_f32_e32 v33, 0x3fb8aa3b, v17
	v_sub_f32_e32 v25, v25, v26
	v_sub_f32_e32 v20, v20, v26
	v_sub_f32_e32 v19, v19, v26
	v_sub_f32_e32 v14, v14, v26
	v_rndne_f32_e32 v57, v33
	v_mul_f32_e32 v41, 0x3fb8aa3b, v25
	v_dual_sub_f32 v15, v15, v26 :: v_dual_mul_f32 v36, 0x3fb8aa3b, v20
	v_sub_f32_e32 v12, v12, v26
	s_delay_alu instid0(VALU_DEP_3) | instskip(NEXT) | instid1(VALU_DEP_3)
	v_rndne_f32_e32 v73, v41
	v_mul_f32_e32 v31, 0x3fb8aa3b, v15
	s_delay_alu instid0(VALU_DEP_3) | instskip(SKIP_2) | instid1(VALU_DEP_4)
	v_dual_sub_f32 v11, v11, v26 :: v_dual_mul_f32 v28, 0x3fb8aa3b, v12
	v_sub_f32_e32 v10, v10, v26
	v_fma_f32 v62, 0x3fb8aa3b, v20, -v36
	v_rndne_f32_e32 v53, v31
	s_delay_alu instid0(VALU_DEP_4)
	v_mul_f32_e32 v27, 0x3fb8aa3b, v11
	v_fma_f32 v46, 0x3fb8aa3b, v12, -v28
	v_sub_f32_e32 v23, v23, v26
	v_fma_f32 v52, 0x3fb8aa3b, v15, -v31
	v_rndne_f32_e32 v47, v28
	v_fma_f32 v44, 0x3fb8aa3b, v11, -v27
	v_dual_fmac_f32 v46, 0x32a5705f, v12 :: v_dual_sub_f32 v21, v21, v26
	v_dual_sub_f32 v18, v18, v26 :: v_dual_mul_f32 v39, 0x3fb8aa3b, v23
	s_delay_alu instid0(VALU_DEP_3) | instskip(NEXT) | instid1(VALU_DEP_3)
	v_fmac_f32_e32 v44, 0x32a5705f, v11
	v_dual_sub_f32 v16, v16, v26 :: v_dual_mul_f32 v37, 0x3fb8aa3b, v21
	v_sub_f32_e32 v13, v13, v26
	v_rndne_f32_e32 v45, v27
	v_sub_f32_e32 v22, v22, v26
	s_delay_alu instid0(VALU_DEP_4) | instskip(NEXT) | instid1(VALU_DEP_4)
	v_dual_mul_f32 v32, 0x3fb8aa3b, v16 :: v_dual_sub_f32 v31, v31, v53
	v_mul_f32_e32 v29, 0x3fb8aa3b, v13
	s_delay_alu instid0(VALU_DEP_4)
	v_sub_f32_e32 v27, v27, v45
	v_rndne_f32_e32 v69, v39
	v_fma_f32 v68, 0x3fb8aa3b, v23, -v39
	v_sub_f32_e32 v28, v28, v47
	v_rndne_f32_e32 v49, v29
	v_sub_f32_e32 v24, v24, v26
	v_mul_f32_e32 v26, 0x3fb8aa3b, v10
	v_fma_f32 v48, 0x3fb8aa3b, v13, -v29
	v_sub_f32_e32 v39, v39, v69
	v_dual_add_f32 v27, v27, v44 :: v_dual_add_f32 v28, v28, v46
	s_delay_alu instid0(VALU_DEP_4) | instskip(SKIP_2) | instid1(VALU_DEP_4)
	v_fma_f32 v42, 0x3fb8aa3b, v10, -v26
	v_rndne_f32_e32 v43, v26
	v_fmac_f32_e32 v48, 0x32a5705f, v13
	v_exp_f32_e32 v27, v27
	v_cvt_i32_f32_e32 v45, v45
	v_fmac_f32_e32 v42, 0x32a5705f, v10
	v_sub_f32_e32 v26, v26, v43
	v_cvt_i32_f32_e32 v43, v43
	v_dual_mul_f32 v35, 0x3fb8aa3b, v19 :: v_dual_mul_f32 v30, 0x3fb8aa3b, v14
	v_exp_f32_e32 v28, v28
	s_delay_alu instid0(VALU_DEP_3)
	v_add_f32_e32 v26, v26, v42
	v_cmp_ngt_f32_e32 vcc_lo, 0xc2ce8ed0, v10
	v_fma_f32 v54, 0x3fb8aa3b, v16, -v32
	v_cvt_i32_f32_e32 v47, v47
	v_sub_f32_e32 v29, v29, v49
	v_exp_f32_e32 v26, v26
	v_mul_f32_e32 v40, 0x3fb8aa3b, v24
	v_fma_f32 v56, 0x3fb8aa3b, v17, -v33
	v_sub_f32_e32 v33, v33, v57
	v_rndne_f32_e32 v51, v30
	v_ldexp_f32 v27, v27, v45
	v_fma_f32 v50, 0x3fb8aa3b, v14, -v30
	v_add_f32_e32 v29, v29, v48
	v_ldexp_f32 v28, v28, v47
	v_sub_f32_e32 v30, v30, v51
	v_ldexp_f32 v26, v26, v43
	v_fma_f32 v60, 0x3fb8aa3b, v19, -v35
	v_rndne_f32_e32 v61, v35
	v_fma_f32 v72, 0x3fb8aa3b, v25, -v41
	v_dual_fmac_f32 v50, 0x32a5705f, v14 :: v_dual_sub_f32 v41, v41, v73
	v_cndmask_b32_e32 v26, 0, v26, vcc_lo
	v_cmp_ngt_f32_e32 vcc_lo, 0xc2ce8ed0, v11
	v_fmac_f32_e32 v54, 0x32a5705f, v16
	v_exp_f32_e32 v29, v29
	v_dual_mul_f32 v34, 0x3fb8aa3b, v18 :: v_dual_sub_f32 v35, v35, v61
	v_cndmask_b32_e32 v27, 0, v27, vcc_lo
	v_cmp_ngt_f32_e32 vcc_lo, 0xc2ce8ed0, v12
	v_cvt_i32_f32_e32 v49, v49
	v_fmac_f32_e32 v72, 0x32a5705f, v25
	v_fmac_f32_e32 v60, 0x32a5705f, v19
	v_add_f32_e32 v30, v30, v50
	v_cndmask_b32_e32 v28, 0, v28, vcc_lo
	v_cmp_nlt_f32_e32 vcc_lo, 0x42b17218, v10
	v_rndne_f32_e32 v55, v32
	v_dual_add_f32 v41, v41, v72 :: v_dual_fmac_f32 v56, 0x32a5705f, v17
	v_dual_add_f32 v35, v35, v60 :: v_dual_cndmask_b32 v10, 0x7f800000, v26
	v_cmp_nlt_f32_e32 vcc_lo, 0x42b17218, v11
	s_delay_alu instid0(VALU_DEP_3)
	v_dual_fmac_f32 v52, 0x32a5705f, v15 :: v_dual_add_f32 v33, v33, v56
	v_exp_f32_e32 v30, v30
	v_ldexp_f32 v29, v29, v49
	v_cndmask_b32_e32 v11, 0x7f800000, v27, vcc_lo
	v_cmp_ngt_f32_e32 vcc_lo, 0xc2ce8ed0, v13
	v_cvt_i32_f32_e32 v51, v51
	v_dual_sub_f32 v32, v32, v55 :: v_dual_add_f32 v31, v31, v52
	v_rndne_f32_e32 v63, v36
	v_cndmask_b32_e32 v26, 0, v29, vcc_lo
	v_cmp_nlt_f32_e32 vcc_lo, 0x42b17218, v12
	s_delay_alu instid0(TRANS32_DEP_1)
	v_ldexp_f32 v30, v30, v51
	v_exp_f32_e32 v31, v31
	v_cvt_i32_f32_e32 v53, v53
	v_add_f32_e32 v32, v32, v54
	v_cndmask_b32_e32 v12, 0x7f800000, v28, vcc_lo
	v_cmp_ngt_f32_e32 vcc_lo, 0xc2ce8ed0, v14
	v_fma_f32 v64, 0x3fb8aa3b, v21, -v37
	v_dual_fmac_f32 v62, 0x32a5705f, v20 :: v_dual_add_f32 v27, v10, v11
	v_exp_f32_e32 v32, v32
	v_cndmask_b32_e32 v28, 0, v30, vcc_lo
	v_cmp_nlt_f32_e32 vcc_lo, 0x42b17218, v13
	v_sub_f32_e32 v36, v36, v63
	v_exp_f32_e32 v41, v41
	v_ldexp_f32 v31, v31, v53
	v_fma_f32 v58, 0x3fb8aa3b, v18, -v34
	v_cndmask_b32_e32 v13, 0x7f800000, v26, vcc_lo
	v_cmp_ngt_f32_e32 vcc_lo, 0xc2ce8ed0, v15
	v_rndne_f32_e32 v59, v34
	v_rndne_f32_e32 v65, v37
	v_cvt_i32_f32_e32 v55, v55
	v_fmac_f32_e32 v64, 0x32a5705f, v21
	v_cvt_i32_f32_e32 v73, v73
	v_dual_add_f32 v26, v27, v12 :: v_dual_cndmask_b32 v27, 0, v31
	v_cmp_nlt_f32_e32 vcc_lo, 0x42b17218, v14
	v_dual_mul_f32 v38, 0x3fb8aa3b, v22 :: v_dual_sub_f32 v37, v37, v65
	v_fmac_f32_e32 v58, 0x32a5705f, v18
	v_exp_f32_e32 v33, v33
	v_ldexp_f32 v32, v32, v55
	v_ldexp_f32 v41, v41, v73
	v_dual_add_f32 v37, v37, v64 :: v_dual_fmac_f32 v68, 0x32a5705f, v23
	v_sub_f32_e32 v34, v34, v59
	v_cndmask_b32_e32 v14, 0x7f800000, v28, vcc_lo
	v_cmp_ngt_f32_e32 vcc_lo, 0xc2ce8ed0, v16
	v_cvt_i32_f32_e32 v57, v57
	s_delay_alu instid0(VALU_DEP_4)
	v_dual_add_f32 v39, v39, v68 :: v_dual_add_f32 v34, v34, v58
	v_fma_f32 v66, 0x3fb8aa3b, v22, -v38
	v_cndmask_b32_e32 v28, 0, v32, vcc_lo
	v_cmp_nlt_f32_e32 vcc_lo, 0x42b17218, v15
	v_ldexp_f32 v33, v33, v57
	v_exp_f32_e32 v34, v34
	v_cvt_i32_f32_e32 v59, v59
	v_exp_f32_e32 v35, v35
	v_cndmask_b32_e32 v15, 0x7f800000, v27, vcc_lo
	v_cmp_ngt_f32_e32 vcc_lo, 0xc2ce8ed0, v17
	v_fmac_f32_e32 v66, 0x32a5705f, v22
	v_cvt_i32_f32_e32 v61, v61
	v_add_f32_e32 v36, v36, v62
	v_fma_f32 v70, 0x3fb8aa3b, v24, -v40
	v_cndmask_b32_e32 v27, 0, v33, vcc_lo
	v_cmp_nlt_f32_e32 vcc_lo, 0x42b17218, v16
	v_ldexp_f32 v34, v34, v59
	v_exp_f32_e32 v36, v36
	v_ldexp_f32 v35, v35, v61
	v_cvt_i32_f32_e32 v63, v63
	v_cndmask_b32_e32 v16, 0x7f800000, v28, vcc_lo
	v_cmp_ngt_f32_e32 vcc_lo, 0xc2ce8ed0, v18
	v_exp_f32_e32 v37, v37
	v_rndne_f32_e32 v67, v38
	v_cvt_i32_f32_e32 v65, v65
	v_add_f32_e32 v26, v26, v13
	v_cndmask_b32_e32 v28, 0, v34, vcc_lo
	v_cmp_nlt_f32_e32 vcc_lo, 0x42b17218, v17
	v_ldexp_f32 v36, v36, v63
	v_rndne_f32_e32 v71, v40
	v_add_f32_e32 v26, v26, v14
	v_exp_f32_e32 v39, v39
	v_cndmask_b32_e32 v17, 0x7f800000, v27, vcc_lo
	v_cmp_ngt_f32_e32 vcc_lo, 0xc2ce8ed0, v19
	v_fmac_f32_e32 v70, 0x32a5705f, v24
	v_ldexp_f32 v37, v37, v65
	v_sub_f32_e32 v40, v40, v71
	v_add_f32_e32 v26, v26, v15
	v_cndmask_b32_e32 v27, 0, v35, vcc_lo
	v_cmp_nlt_f32_e32 vcc_lo, 0x42b17218, v18
	v_cvt_i32_f32_e32 v69, v69
	v_add_f32_e32 v40, v40, v70
	v_add_f32_e32 v26, v26, v16
	v_cvt_i32_f32_e32 v71, v71
	v_cndmask_b32_e32 v18, 0x7f800000, v28, vcc_lo
	v_cmp_ngt_f32_e32 vcc_lo, 0xc2ce8ed0, v20
	v_exp_f32_e32 v40, v40
	v_ldexp_f32 v39, v39, v69
	v_add_f32_e32 v26, v26, v17
	v_cndmask_b32_e32 v28, 0, v36, vcc_lo
	v_cmp_nlt_f32_e32 vcc_lo, 0x42b17218, v19
	s_delay_alu instid0(VALU_DEP_3) | instskip(SKIP_3) | instid1(TRANS32_DEP_1)
	v_dual_add_f32 v26, v26, v18 :: v_dual_cndmask_b32 v19, 0x7f800000, v27
	v_cmp_ngt_f32_e32 vcc_lo, 0xc2ce8ed0, v21
	v_sub_f32_e32 v38, v38, v67
	v_cvt_i32_f32_e32 v67, v67
	v_ldexp_f32 v40, v40, v71
	v_dual_add_f32 v26, v26, v19 :: v_dual_cndmask_b32 v27, 0, v37
	s_delay_alu instid0(VALU_DEP_4) | instskip(SKIP_1) | instid1(VALU_DEP_2)
	v_add_f32_e32 v38, v38, v66
	v_cmp_nlt_f32_e32 vcc_lo, 0x42b17218, v20
	v_exp_f32_e32 v38, v38
	v_cndmask_b32_e32 v20, 0x7f800000, v28, vcc_lo
	v_cmp_ngt_f32_e32 vcc_lo, 0xc2ce8ed0, v22
	s_delay_alu instid0(VALU_DEP_2) | instskip(SKIP_2) | instid1(VALU_DEP_1)
	v_add_f32_e32 v26, v26, v20
	s_waitcnt_depctr 0xfff
	v_ldexp_f32 v38, v38, v67
	v_cndmask_b32_e32 v28, 0, v38, vcc_lo
	v_cmp_nlt_f32_e32 vcc_lo, 0x42b17218, v21
	v_cndmask_b32_e32 v21, 0x7f800000, v27, vcc_lo
	v_cmp_ngt_f32_e32 vcc_lo, 0xc2ce8ed0, v23
	s_delay_alu instid0(VALU_DEP_2) | instskip(SKIP_3) | instid1(VALU_DEP_2)
	v_dual_add_f32 v26, v26, v21 :: v_dual_cndmask_b32 v27, 0, v39
	v_cmp_nlt_f32_e32 vcc_lo, 0x42b17218, v22
	v_cndmask_b32_e32 v22, 0x7f800000, v28, vcc_lo
	v_cmp_ngt_f32_e32 vcc_lo, 0xc2ce8ed0, v24
	v_add_f32_e32 v26, v26, v22
	v_cndmask_b32_e32 v28, 0, v40, vcc_lo
	v_cmp_nlt_f32_e32 vcc_lo, 0x42b17218, v23
	v_cndmask_b32_e32 v23, 0x7f800000, v27, vcc_lo
	v_cmp_ngt_f32_e32 vcc_lo, 0xc2ce8ed0, v25
	s_delay_alu instid0(VALU_DEP_2) | instskip(SKIP_3) | instid1(VALU_DEP_2)
	v_dual_add_f32 v26, v26, v23 :: v_dual_cndmask_b32 v27, 0, v41
	v_cmp_nlt_f32_e32 vcc_lo, 0x42b17218, v24
	v_cndmask_b32_e32 v24, 0x7f800000, v28, vcc_lo
	v_cmp_nlt_f32_e32 vcc_lo, 0x42b17218, v25
	v_dual_add_f32 v26, v26, v24 :: v_dual_cndmask_b32 v25, 0x7f800000, v27
	s_delay_alu instid0(VALU_DEP_1)
	v_add_f32_e32 v26, v26, v25
	ds_bpermute_b32 v27, v3, v26
	s_waitcnt lgkmcnt(0)
	v_add_f32_e32 v26, v26, v27
	ds_bpermute_b32 v27, v4, v26
	s_waitcnt lgkmcnt(0)
	;; [unrolled: 3-line block ×5, first 2 shown]
	v_add_f32_e32 v26, v26, v27
	s_delay_alu instid0(VALU_DEP_1) | instskip(SKIP_1) | instid1(VALU_DEP_2)
	v_div_scale_f32 v27, null, v26, v26, 1.0
	v_div_scale_f32 v30, vcc_lo, 1.0, v26, 1.0
	v_rcp_f32_e32 v28, v27
	s_waitcnt_depctr 0xfff
	v_fma_f32 v29, -v27, v28, 1.0
	s_delay_alu instid0(VALU_DEP_1) | instskip(NEXT) | instid1(VALU_DEP_1)
	v_fmac_f32_e32 v28, v29, v28
	v_mul_f32_e32 v29, v30, v28
	s_delay_alu instid0(VALU_DEP_1) | instskip(NEXT) | instid1(VALU_DEP_1)
	v_fma_f32 v31, -v27, v29, v30
	v_fmac_f32_e32 v29, v31, v28
	s_delay_alu instid0(VALU_DEP_1) | instskip(NEXT) | instid1(VALU_DEP_1)
	v_fma_f32 v27, -v27, v29, v30
	v_div_fmas_f32 v27, v27, v28, v29
	s_delay_alu instid0(VALU_DEP_1) | instskip(NEXT) | instid1(VALU_DEP_1)
	v_div_fixup_f32 v26, v27, v26, 1.0
	v_mul_f32_e32 v9, v26, v11
	v_mul_f32_e32 v11, v26, v13
	v_mul_f32_e32 v8, v26, v10
	v_mul_f32_e32 v13, v26, v15
	v_mul_f32_e32 v10, v26, v12
	v_mul_f32_e32 v15, v26, v17
	v_mul_f32_e32 v17, v26, v19
	v_mul_f32_e32 v12, v26, v14
	v_mul_f32_e32 v19, v26, v21
	v_mul_f32_e32 v21, v26, v23
	v_mul_f32_e32 v14, v26, v16
	v_mul_f32_e32 v16, v26, v18
	v_mul_f32_e32 v18, v26, v20
	v_mul_f32_e32 v20, v26, v22
	v_mul_f32_e32 v22, v26, v24
	v_mul_f32_e32 v23, v26, v25
	ds_store_b128 v0, v[8:11]
	ds_store_b128 v0, v[12:15] offset:16
	ds_store_b128 v0, v[16:19] offset:32
	;; [unrolled: 1-line block ×3, first 2 shown]
	s_cbranch_scc1 .LBB64_30
; %bb.4:
	s_load_b128 s[8:11], s[2:3], 0x20
	v_mul_lo_u32 v8, v1, s4
	v_dual_mov_b32 v10, 0xc61c4000 :: v_dual_lshlrev_b32 v9, 2, v2
	v_cmp_eq_u32_e32 vcc_lo, 0, v2
	s_branch .LBB64_6
.LBB64_5:                               ;   in Loop: Header=BB64_6 Depth=1
	s_or_b32 exec_lo, exec_lo, s0
	v_add_nc_u32_e32 v1, s14, v1
	s_cmp_lg_u32 s4, s7
	s_cbranch_scc0 .LBB64_30
.LBB64_6:                               ; =>This Inner Loop Header: Depth=1
	ds_load_b128 v[11:14], v0
	ds_load_b128 v[15:18], v0 offset:16
	s_mov_b32 s3, exec_lo
	s_waitcnt lgkmcnt(0)
	v_cmp_gt_f32_e64 s0, v12, v11
	s_delay_alu instid0(VALU_DEP_1) | instskip(SKIP_1) | instid1(VALU_DEP_2)
	v_cndmask_b32_e64 v11, v11, v12, s0
	v_cndmask_b32_e64 v12, 0, 1, s0
	v_cmp_gt_f32_e64 s0, v13, v11
	s_delay_alu instid0(VALU_DEP_1) | instskip(NEXT) | instid1(VALU_DEP_3)
	v_cndmask_b32_e64 v11, v11, v13, s0
	v_cndmask_b32_e64 v12, v12, 2, s0
	s_delay_alu instid0(VALU_DEP_2) | instskip(NEXT) | instid1(VALU_DEP_1)
	v_cmp_gt_f32_e64 s0, v14, v11
	v_cndmask_b32_e64 v11, v11, v14, s0
	s_delay_alu instid0(VALU_DEP_3) | instskip(NEXT) | instid1(VALU_DEP_2)
	v_cndmask_b32_e64 v19, v12, 3, s0
	v_cmp_gt_f32_e64 s0, v15, v11
	s_delay_alu instid0(VALU_DEP_1) | instskip(NEXT) | instid1(VALU_DEP_3)
	v_cndmask_b32_e64 v15, v11, v15, s0
	v_cndmask_b32_e64 v19, v19, 0x80, s0
	ds_load_b128 v[11:14], v0 offset:32
	v_cmp_gt_f32_e64 s0, v16, v15
	s_delay_alu instid0(VALU_DEP_1) | instskip(SKIP_1) | instid1(VALU_DEP_2)
	v_cndmask_b32_e64 v15, v15, v16, s0
	v_cndmask_b32_e64 v16, v19, 0x81, s0
	v_cmp_gt_f32_e64 s0, v17, v15
	s_delay_alu instid0(VALU_DEP_1) | instskip(NEXT) | instid1(VALU_DEP_3)
	v_cndmask_b32_e64 v15, v15, v17, s0
	v_cndmask_b32_e64 v19, v16, 0x82, s0
	s_delay_alu instid0(VALU_DEP_2) | instskip(NEXT) | instid1(VALU_DEP_1)
	v_cmp_gt_f32_e64 s0, v18, v15
	v_cndmask_b32_e64 v20, v15, v18, s0
	ds_load_b128 v[15:18], v0 offset:48
	v_cndmask_b32_e64 v19, v19, 0x83, s0
	s_waitcnt lgkmcnt(1)
	v_cmp_gt_f32_e64 s0, v11, v20
	s_delay_alu instid0(VALU_DEP_1) | instskip(NEXT) | instid1(VALU_DEP_3)
	v_cndmask_b32_e64 v11, v20, v11, s0
	v_cndmask_b32_e64 v19, v19, 0x100, s0
	s_delay_alu instid0(VALU_DEP_2) | instskip(NEXT) | instid1(VALU_DEP_1)
	v_cmp_gt_f32_e64 s0, v12, v11
	v_cndmask_b32_e64 v11, v11, v12, s0
	s_delay_alu instid0(VALU_DEP_3) | instskip(NEXT) | instid1(VALU_DEP_2)
	v_cndmask_b32_e64 v12, v19, 0x101, s0
	v_cmp_gt_f32_e64 s0, v13, v11
	s_delay_alu instid0(VALU_DEP_1) | instskip(NEXT) | instid1(VALU_DEP_3)
	v_cndmask_b32_e64 v11, v11, v13, s0
	v_cndmask_b32_e64 v12, v12, 0x102, s0
	s_delay_alu instid0(VALU_DEP_2) | instskip(NEXT) | instid1(VALU_DEP_1)
	v_cmp_gt_f32_e64 s0, v14, v11
	v_cndmask_b32_e64 v11, v11, v14, s0
	s_delay_alu instid0(VALU_DEP_3) | instskip(SKIP_1) | instid1(VALU_DEP_2)
	v_cndmask_b32_e64 v12, v12, 0x103, s0
	s_waitcnt lgkmcnt(0)
	v_cmp_gt_f32_e64 s0, v15, v11
	s_delay_alu instid0(VALU_DEP_1) | instskip(NEXT) | instid1(VALU_DEP_3)
	v_cndmask_b32_e64 v11, v11, v15, s0
	v_cndmask_b32_e64 v12, v12, 0x180, s0
	s_delay_alu instid0(VALU_DEP_2) | instskip(NEXT) | instid1(VALU_DEP_1)
	v_cmp_gt_f32_e64 s0, v16, v11
	v_cndmask_b32_e64 v11, v11, v16, s0
	s_delay_alu instid0(VALU_DEP_3) | instskip(NEXT) | instid1(VALU_DEP_2)
	v_cndmask_b32_e64 v12, v12, 0x181, s0
	v_cmp_gt_f32_e64 s0, v17, v11
	s_delay_alu instid0(VALU_DEP_1) | instskip(NEXT) | instid1(VALU_DEP_3)
	v_cndmask_b32_e64 v11, v11, v17, s0
	v_cndmask_b32_e64 v13, v12, 0x182, s0
	s_delay_alu instid0(VALU_DEP_2) | instskip(NEXT) | instid1(VALU_DEP_1)
	v_cmp_gt_f32_e64 s0, v18, v11
	v_cndmask_b32_e64 v12, v11, v18, s0
	s_delay_alu instid0(VALU_DEP_3)
	v_cndmask_b32_e64 v11, v13, 0x183, s0
	ds_bpermute_b32 v13, v3, v12
	v_or_b32_e32 v11, v9, v11
	ds_bpermute_b32 v14, v3, v11
	s_waitcnt lgkmcnt(1)
	v_cmp_lt_f32_e64 s2, v12, v13
	v_cmpx_nlt_f32_e32 v12, v13
	s_cbranch_execz .LBB64_8
; %bb.7:                                ;   in Loop: Header=BB64_6 Depth=1
	v_cmp_eq_f32_e64 s0, v12, v13
	s_waitcnt lgkmcnt(0)
	v_cmp_lt_i32_e64 s1, v14, v11
	s_delay_alu instid0(VALU_DEP_1) | instskip(SKIP_2) | instid1(SALU_CYCLE_1)
	s_and_b32 s0, s0, s1
	s_and_not1_b32 s1, s2, exec_lo
	s_and_b32 s0, s0, exec_lo
	s_or_b32 s2, s1, s0
.LBB64_8:                               ;   in Loop: Header=BB64_6 Depth=1
	s_or_b32 exec_lo, exec_lo, s3
	s_delay_alu instid0(VALU_DEP_2)
	s_and_saveexec_b32 s0, s2
	s_cbranch_execz .LBB64_10
; %bb.9:                                ;   in Loop: Header=BB64_6 Depth=1
	s_waitcnt lgkmcnt(0)
	v_dual_mov_b32 v12, v13 :: v_dual_mov_b32 v11, v14
.LBB64_10:                              ;   in Loop: Header=BB64_6 Depth=1
	s_or_b32 exec_lo, exec_lo, s0
	s_waitcnt lgkmcnt(0)
	ds_bpermute_b32 v14, v4, v12
	ds_bpermute_b32 v13, v4, v11
	s_mov_b32 s3, exec_lo
	s_waitcnt lgkmcnt(1)
	v_cmp_lt_f32_e64 s2, v12, v14
	v_cmpx_nlt_f32_e32 v12, v14
	s_cbranch_execz .LBB64_12
; %bb.11:                               ;   in Loop: Header=BB64_6 Depth=1
	v_cmp_eq_f32_e64 s0, v12, v14
	s_waitcnt lgkmcnt(0)
	v_cmp_lt_i32_e64 s1, v13, v11
	s_delay_alu instid0(VALU_DEP_1) | instskip(SKIP_2) | instid1(SALU_CYCLE_1)
	s_and_b32 s0, s0, s1
	s_and_not1_b32 s1, s2, exec_lo
	s_and_b32 s0, s0, exec_lo
	s_or_b32 s2, s1, s0
.LBB64_12:                              ;   in Loop: Header=BB64_6 Depth=1
	s_or_b32 exec_lo, exec_lo, s3
	s_delay_alu instid0(VALU_DEP_2)
	s_and_saveexec_b32 s0, s2
	s_cbranch_execz .LBB64_14
; %bb.13:                               ;   in Loop: Header=BB64_6 Depth=1
	s_waitcnt lgkmcnt(0)
	v_dual_mov_b32 v12, v14 :: v_dual_mov_b32 v11, v13
.LBB64_14:                              ;   in Loop: Header=BB64_6 Depth=1
	s_or_b32 exec_lo, exec_lo, s0
	ds_bpermute_b32 v14, v5, v12
	s_waitcnt lgkmcnt(1)
	ds_bpermute_b32 v13, v5, v11
	s_mov_b32 s3, exec_lo
	s_waitcnt lgkmcnt(1)
	v_cmp_lt_f32_e64 s2, v12, v14
	v_cmpx_nlt_f32_e32 v12, v14
	s_cbranch_execz .LBB64_16
; %bb.15:                               ;   in Loop: Header=BB64_6 Depth=1
	v_cmp_eq_f32_e64 s0, v12, v14
	s_waitcnt lgkmcnt(0)
	v_cmp_lt_i32_e64 s1, v13, v11
	s_delay_alu instid0(VALU_DEP_1) | instskip(SKIP_2) | instid1(SALU_CYCLE_1)
	s_and_b32 s0, s0, s1
	s_and_not1_b32 s1, s2, exec_lo
	s_and_b32 s0, s0, exec_lo
	s_or_b32 s2, s1, s0
.LBB64_16:                              ;   in Loop: Header=BB64_6 Depth=1
	s_or_b32 exec_lo, exec_lo, s3
	s_delay_alu instid0(VALU_DEP_2)
	s_and_saveexec_b32 s0, s2
	s_cbranch_execz .LBB64_18
; %bb.17:                               ;   in Loop: Header=BB64_6 Depth=1
	s_waitcnt lgkmcnt(0)
	v_dual_mov_b32 v12, v14 :: v_dual_mov_b32 v11, v13
.LBB64_18:                              ;   in Loop: Header=BB64_6 Depth=1
	s_or_b32 exec_lo, exec_lo, s0
	ds_bpermute_b32 v14, v6, v12
	s_waitcnt lgkmcnt(1)
	ds_bpermute_b32 v13, v6, v11
	s_mov_b32 s3, exec_lo
	s_waitcnt lgkmcnt(1)
	v_cmp_lt_f32_e64 s2, v12, v14
	v_cmpx_nlt_f32_e32 v12, v14
	s_cbranch_execz .LBB64_20
; %bb.19:                               ;   in Loop: Header=BB64_6 Depth=1
	v_cmp_eq_f32_e64 s0, v12, v14
	s_waitcnt lgkmcnt(0)
	v_cmp_lt_i32_e64 s1, v13, v11
	s_delay_alu instid0(VALU_DEP_1) | instskip(SKIP_2) | instid1(SALU_CYCLE_1)
	s_and_b32 s0, s0, s1
	s_and_not1_b32 s1, s2, exec_lo
	s_and_b32 s0, s0, exec_lo
	s_or_b32 s2, s1, s0
.LBB64_20:                              ;   in Loop: Header=BB64_6 Depth=1
	s_or_b32 exec_lo, exec_lo, s3
	s_delay_alu instid0(VALU_DEP_2)
	s_and_saveexec_b32 s0, s2
	s_cbranch_execz .LBB64_22
; %bb.21:                               ;   in Loop: Header=BB64_6 Depth=1
	s_waitcnt lgkmcnt(0)
	v_dual_mov_b32 v12, v14 :: v_dual_mov_b32 v11, v13
.LBB64_22:                              ;   in Loop: Header=BB64_6 Depth=1
	s_or_b32 exec_lo, exec_lo, s0
	s_waitcnt lgkmcnt(0)
	ds_bpermute_b32 v13, v7, v12
	ds_bpermute_b32 v14, v7, v11
	s_mov_b32 s3, exec_lo
	s_waitcnt lgkmcnt(1)
	v_cmp_lt_f32_e64 s2, v12, v13
	v_cmpx_nlt_f32_e32 v12, v13
	s_cbranch_execnz .LBB64_28
; %bb.23:                               ;   in Loop: Header=BB64_6 Depth=1
	s_or_b32 exec_lo, exec_lo, s3
	s_delay_alu instid0(VALU_DEP_2)
	s_and_saveexec_b32 s0, s2
	s_cbranch_execnz .LBB64_29
.LBB64_24:                              ;   in Loop: Header=BB64_6 Depth=1
	s_or_b32 exec_lo, exec_lo, s0
	s_and_saveexec_b32 s2, vcc_lo
	s_cbranch_execz .LBB64_26
.LBB64_25:                              ;   in Loop: Header=BB64_6 Depth=1
	v_add_nc_u32_e32 v13, s7, v8
	v_subrev_nc_u32_e32 v17, s5, v11
	v_cmp_le_i32_e64 s0, s5, v11
	v_cmp_gt_i32_e64 s1, s6, v11
	s_waitcnt lgkmcnt(0)
	v_ashrrev_i32_e32 v14, 31, v13
	v_ashrrev_i32_e32 v18, 31, v17
	s_delay_alu instid0(VALU_DEP_3) | instskip(NEXT) | instid1(SALU_CYCLE_1)
	s_and_b32 s0, s0, s1
	s_and_b32 s0, s15, s0
	s_delay_alu instid0(VALU_DEP_2) | instskip(SKIP_3) | instid1(VALU_DEP_4)
	v_lshlrev_b64 v[15:16], 2, v[13:14]
	v_lshlrev_b64 v[13:14], 3, v[13:14]
	v_cndmask_b32_e64 v18, 0, v18, s0
	v_cndmask_b32_e64 v17, 0x200, v17, s0
	v_add_co_u32 v19, s0, s12, v15
	s_delay_alu instid0(VALU_DEP_1) | instskip(SKIP_1) | instid1(VALU_DEP_1)
	v_add_co_ci_u32_e64 v20, s0, s13, v16, s0
	v_add_co_u32 v13, s0, s8, v13
	v_add_co_ci_u32_e64 v14, s0, s9, v14, s0
	v_add_co_u32 v15, s0, s10, v15
	s_delay_alu instid0(VALU_DEP_1)
	v_add_co_ci_u32_e64 v16, s0, s11, v16, s0
	global_store_b32 v[19:20], v12, off
	global_store_b64 v[13:14], v[17:18], off
	global_store_b32 v[15:16], v1, off
.LBB64_26:                              ;   in Loop: Header=BB64_6 Depth=1
	s_or_b32 exec_lo, exec_lo, s2
	v_ashrrev_i32_e32 v12, 31, v11
	s_add_i32 s7, s7, 1
	s_delay_alu instid0(SALU_CYCLE_1) | instskip(SKIP_1) | instid1(VALU_DEP_1)
	s_cmp_lt_i32 s7, s4
	s_cselect_b32 s1, -1, 0
	v_lshrrev_b32_e32 v13, 30, v12
	s_delay_alu instid0(VALU_DEP_1) | instskip(SKIP_1) | instid1(VALU_DEP_1)
	v_add_nc_u32_e32 v13, v11, v13
	s_waitcnt lgkmcnt(0)
	v_ashrrev_i32_e32 v14, 31, v13
	v_ashrrev_i32_e32 v13, 2, v13
	s_delay_alu instid0(VALU_DEP_2) | instskip(NEXT) | instid1(VALU_DEP_1)
	v_lshrrev_b32_e32 v14, 27, v14
	v_add_nc_u32_e32 v14, v13, v14
	s_delay_alu instid0(VALU_DEP_1) | instskip(NEXT) | instid1(VALU_DEP_1)
	v_and_b32_e32 v14, 0xffffffe0, v14
	v_sub_nc_u32_e32 v14, v13, v14
	s_delay_alu instid0(VALU_DEP_1) | instskip(NEXT) | instid1(VALU_DEP_1)
	v_cmp_eq_u32_e64 s0, v2, v14
	s_and_b32 s1, s1, s0
	s_delay_alu instid0(SALU_CYCLE_1)
	s_and_saveexec_b32 s0, s1
	s_cbranch_execz .LBB64_5
; %bb.27:                               ;   in Loop: Header=BB64_6 Depth=1
	v_lshrrev_b32_e32 v12, 25, v12
	v_lshlrev_b32_e32 v13, 2, v13
	s_delay_alu instid0(VALU_DEP_2) | instskip(NEXT) | instid1(VALU_DEP_2)
	v_add_nc_u32_e32 v12, v11, v12
	v_sub_nc_u32_e32 v11, v11, v13
	s_delay_alu instid0(VALU_DEP_2) | instskip(NEXT) | instid1(VALU_DEP_1)
	v_ashrrev_i32_e32 v12, 7, v12
	v_lshl_add_u32 v11, v12, 2, v11
	s_delay_alu instid0(VALU_DEP_1)
	v_lshl_add_u32 v11, v11, 2, v0
	ds_store_b32 v11, v10
	s_branch .LBB64_5
.LBB64_28:                              ;   in Loop: Header=BB64_6 Depth=1
	v_cmp_eq_f32_e64 s0, v12, v13
	s_waitcnt lgkmcnt(0)
	v_cmp_lt_i32_e64 s1, v14, v11
	s_delay_alu instid0(VALU_DEP_1) | instskip(SKIP_2) | instid1(SALU_CYCLE_1)
	s_and_b32 s0, s0, s1
	s_and_not1_b32 s1, s2, exec_lo
	s_and_b32 s0, s0, exec_lo
	s_or_b32 s2, s1, s0
	s_or_b32 exec_lo, exec_lo, s3
	s_and_saveexec_b32 s0, s2
	s_cbranch_execz .LBB64_24
.LBB64_29:                              ;   in Loop: Header=BB64_6 Depth=1
	s_waitcnt lgkmcnt(0)
	v_dual_mov_b32 v12, v13 :: v_dual_mov_b32 v11, v14
	s_or_b32 exec_lo, exec_lo, s0
	s_and_saveexec_b32 s2, vcc_lo
	s_cbranch_execnz .LBB64_25
	s_branch .LBB64_26
.LBB64_30:
	s_nop 0
	s_sendmsg sendmsg(MSG_DEALLOC_VGPRS)
	s_endpgm
	.section	.rodata,"a",@progbits
	.p2align	6, 0x0
	.amdhsa_kernel _ZN4vllm3moe17topkGatingSoftmaxILi16ELi512ELi4ELi16ELi32ElEEvPKfPKbPfiPT4_Piiii
		.amdhsa_group_segment_fixed_size 8192
		.amdhsa_private_segment_fixed_size 0
		.amdhsa_kernarg_size 60
		.amdhsa_user_sgpr_count 15
		.amdhsa_user_sgpr_dispatch_ptr 1
		.amdhsa_user_sgpr_queue_ptr 0
		.amdhsa_user_sgpr_kernarg_segment_ptr 1
		.amdhsa_user_sgpr_dispatch_id 0
		.amdhsa_user_sgpr_private_segment_size 0
		.amdhsa_wavefront_size32 1
		.amdhsa_uses_dynamic_stack 0
		.amdhsa_enable_private_segment 0
		.amdhsa_system_sgpr_workgroup_id_x 1
		.amdhsa_system_sgpr_workgroup_id_y 0
		.amdhsa_system_sgpr_workgroup_id_z 0
		.amdhsa_system_sgpr_workgroup_info 0
		.amdhsa_system_vgpr_workitem_id 2
		.amdhsa_next_free_vgpr 74
		.amdhsa_next_free_sgpr 16
		.amdhsa_reserve_vcc 1
		.amdhsa_float_round_mode_32 0
		.amdhsa_float_round_mode_16_64 0
		.amdhsa_float_denorm_mode_32 3
		.amdhsa_float_denorm_mode_16_64 3
		.amdhsa_dx10_clamp 1
		.amdhsa_ieee_mode 1
		.amdhsa_fp16_overflow 0
		.amdhsa_workgroup_processor_mode 1
		.amdhsa_memory_ordered 1
		.amdhsa_forward_progress 0
		.amdhsa_shared_vgpr_count 0
		.amdhsa_exception_fp_ieee_invalid_op 0
		.amdhsa_exception_fp_denorm_src 0
		.amdhsa_exception_fp_ieee_div_zero 0
		.amdhsa_exception_fp_ieee_overflow 0
		.amdhsa_exception_fp_ieee_underflow 0
		.amdhsa_exception_fp_ieee_inexact 0
		.amdhsa_exception_int_div_zero 0
	.end_amdhsa_kernel
	.section	.text._ZN4vllm3moe17topkGatingSoftmaxILi16ELi512ELi4ELi16ELi32ElEEvPKfPKbPfiPT4_Piiii,"axG",@progbits,_ZN4vllm3moe17topkGatingSoftmaxILi16ELi512ELi4ELi16ELi32ElEEvPKfPKbPfiPT4_Piiii,comdat
.Lfunc_end64:
	.size	_ZN4vllm3moe17topkGatingSoftmaxILi16ELi512ELi4ELi16ELi32ElEEvPKfPKbPfiPT4_Piiii, .Lfunc_end64-_ZN4vllm3moe17topkGatingSoftmaxILi16ELi512ELi4ELi16ELi32ElEEvPKfPKbPfiPT4_Piiii
                                        ; -- End function
	.section	.AMDGPU.csdata,"",@progbits
; Kernel info:
; codeLenInByte = 3988
; NumSgprs: 18
; NumVgprs: 74
; ScratchSize: 0
; MemoryBound: 0
; FloatMode: 240
; IeeeMode: 1
; LDSByteSize: 8192 bytes/workgroup (compile time only)
; SGPRBlocks: 2
; VGPRBlocks: 9
; NumSGPRsForWavesPerEU: 18
; NumVGPRsForWavesPerEU: 74
; Occupancy: 16
; WaveLimiterHint : 0
; COMPUTE_PGM_RSRC2:SCRATCH_EN: 0
; COMPUTE_PGM_RSRC2:USER_SGPR: 15
; COMPUTE_PGM_RSRC2:TRAP_HANDLER: 0
; COMPUTE_PGM_RSRC2:TGID_X_EN: 1
; COMPUTE_PGM_RSRC2:TGID_Y_EN: 0
; COMPUTE_PGM_RSRC2:TGID_Z_EN: 0
; COMPUTE_PGM_RSRC2:TIDIG_COMP_CNT: 2
	.section	.text._ZN4vllm3moe7moeTopKILi256ElEEvPKfPKbPfPT0_Piiiii,"axG",@progbits,_ZN4vllm3moe7moeTopKILi256ElEEvPKfPKbPfPT0_Piiiii,comdat
	.protected	_ZN4vllm3moe7moeTopKILi256ElEEvPKfPKbPfPT0_Piiiii ; -- Begin function _ZN4vllm3moe7moeTopKILi256ElEEvPKfPKbPfPT0_Piiiii
	.globl	_ZN4vllm3moe7moeTopKILi256ElEEvPKfPKbPfPT0_Piiiii
	.p2align	8
	.type	_ZN4vllm3moe7moeTopKILi256ElEEvPKfPKbPfPT0_Piiiii,@function
_ZN4vllm3moe7moeTopKILi256ElEEvPKfPKbPfPT0_Piiiii: ; @_ZN4vllm3moe7moeTopKILi256ElEEvPKfPKbPfPT0_Piiiii
; %bb.0:
	s_load_b256 s[16:23], s[0:1], 0x0
	s_mov_b32 s32, 0
	s_waitcnt lgkmcnt(0)
	s_cmp_eq_u64 s[18:19], 0
	s_cbranch_scc1 .LBB65_3
; %bb.1:
	v_mov_b32_e32 v1, 0
	s_ashr_i32 s3, s15, 31
	s_add_u32 s2, s18, s15
	s_addc_u32 s3, s19, s3
	global_load_u8 v1, v1, s[2:3]
	s_waitcnt vmcnt(0)
	v_readfirstlane_b32 s2, v1
	s_delay_alu instid0(VALU_DEP_1) | instskip(SKIP_1) | instid1(SALU_CYCLE_1)
	s_bitcmp1_b32 s2, 0
	s_cselect_b32 s2, -1, 0
	s_xor_b32 s14, s2, -1
	s_load_b128 s[8:11], s[0:1], 0x28
	s_waitcnt lgkmcnt(0)
	s_cmp_lt_i32 s9, 1
	s_cbranch_scc0 .LBB65_4
.LBB65_2:
	s_nop 0
	s_sendmsg sendmsg(MSG_DEALLOC_VGPRS)
	s_endpgm
.LBB65_3:
	s_mov_b32 s14, -1
	s_load_b128 s[8:11], s[0:1], 0x28
	s_waitcnt lgkmcnt(0)
	s_cmp_lt_i32 s9, 1
	s_cbranch_scc1 .LBB65_2
.LBB65_4:
	v_mbcnt_lo_u32_b32 v6, -1, 0
	s_clause 0x1
	s_load_b64 s[12:13], s[0:1], 0x20
	s_load_b32 s26, s[0:1], 0x38
	v_lshrrev_b32_e32 v2, 2, v0
	s_mul_i32 s18, s15, s9
	v_cmp_gt_i32_e64 s2, s8, v0
	v_and_b32_e32 v3, 7, v6
	s_ashr_i32 s19, s18, 31
	v_dual_mov_b32 v1, 0x7c :: v_dual_and_b32 v2, 56, v2
	v_cmp_eq_u32_e64 s3, 0, v6
	s_delay_alu instid0(VALU_DEP_3)
	v_cmp_gt_u32_e32 vcc_lo, 6, v3
	v_cmp_gt_u32_e64 s4, 32, v0
	v_cmp_eq_u32_e64 s5, 0, v0
	s_lshl_b64 s[6:7], s[18:19], 3
	s_mul_i32 s27, s15, s8
	v_cndmask_b32_e64 v4, 0, 1, vcc_lo
	v_cmp_gt_u32_e32 vcc_lo, 4, v3
	s_add_u32 s24, s22, s6
	s_mov_b32 s28, 0
	s_addc_u32 s25, s23, s7
	v_lshlrev_b32_e32 v8, 1, v4
	v_cndmask_b32_e64 v5, 0, 1, vcc_lo
	v_cmp_ne_u32_e32 vcc_lo, 7, v3
	v_lshlrev_b32_e32 v3, 3, v3
	s_mov_b32 s29, 0
                                        ; implicit-def: $sgpr19
                                        ; implicit-def: $sgpr30
	s_delay_alu instid0(VALU_DEP_3) | instskip(SKIP_1) | instid1(VALU_DEP_1)
	v_lshlrev_b32_e32 v9, 2, v5
	v_add_co_ci_u32_e32 v7, vcc_lo, 0, v6, vcc_lo
	v_dual_mov_b32 v7, 0 :: v_dual_lshlrev_b32 v4, 2, v7
	v_add_lshl_u32 v5, v8, v6, 2
	s_delay_alu instid0(VALU_DEP_4)
	v_add_lshl_u32 v6, v9, v6, 2
	s_branch .LBB65_6
.LBB65_5:                               ;   in Loop: Header=BB65_6 Depth=1
	s_or_b32 exec_lo, exec_lo, s6
	s_delay_alu instid0(SALU_CYCLE_1) | instskip(NEXT) | instid1(SALU_CYCLE_1)
	s_and_b32 s6, exec_lo, s31
	s_or_b32 s28, s6, s28
	s_and_not1_b32 s6, s19, exec_lo
	s_and_b32 s7, s30, exec_lo
	s_delay_alu instid0(SALU_CYCLE_1)
	s_or_b32 s19, s6, s7
	s_and_not1_b32 exec_lo, exec_lo, s28
	s_cbranch_execz .LBB65_25
.LBB65_6:                               ; =>This Loop Header: Depth=1
                                        ;     Child Loop BB65_9 Depth 2
                                        ;       Child Loop BB65_11 Depth 3
	v_dual_mov_b32 v8, -1.0 :: v_dual_mov_b32 v9, 0
	s_and_saveexec_b32 s31, s2
	s_cbranch_execz .LBB65_15
; %bb.7:                                ;   in Loop: Header=BB65_6 Depth=1
	v_dual_mov_b32 v8, -1.0 :: v_dual_mov_b32 v9, 0
	v_mov_b32_e32 v10, v0
	s_cmp_lg_u32 s29, 0
	s_mov_b32 s34, 0
	s_cselect_b32 s33, -1, 0
	s_set_inst_prefetch_distance 0x1
	s_branch .LBB65_9
	.p2align	6
.LBB65_8:                               ;   in Loop: Header=BB65_9 Depth=2
	s_or_b32 exec_lo, exec_lo, s7
	v_add_nc_u32_e32 v10, 0x100, v10
	s_delay_alu instid0(VALU_DEP_1) | instskip(SKIP_1) | instid1(SALU_CYCLE_1)
	v_cmp_le_i32_e32 vcc_lo, s8, v10
	s_or_b32 s34, vcc_lo, s34
	s_and_not1_b32 exec_lo, exec_lo, s34
	s_cbranch_execz .LBB65_14
.LBB65_9:                               ;   Parent Loop BB65_6 Depth=1
                                        ; =>  This Loop Header: Depth=2
                                        ;       Child Loop BB65_11 Depth 3
	v_add_nc_u32_e32 v11, s27, v10
	s_delay_alu instid0(VALU_DEP_1) | instskip(NEXT) | instid1(VALU_DEP_1)
	v_ashrrev_i32_e32 v12, 31, v11
	v_lshlrev_b64 v[11:12], 2, v[11:12]
	s_delay_alu instid0(VALU_DEP_1) | instskip(NEXT) | instid1(VALU_DEP_2)
	v_add_co_u32 v11, vcc_lo, s16, v11
	v_add_co_ci_u32_e32 v12, vcc_lo, s17, v12, vcc_lo
	s_and_not1_b32 vcc_lo, exec_lo, s33
	global_load_b32 v11, v[11:12], off
	v_mov_b32_e32 v12, v10
	s_cbranch_vccnz .LBB65_12
; %bb.10:                               ;   in Loop: Header=BB65_9 Depth=2
	s_mov_b32 s35, 0
	s_mov_b64 s[6:7], s[24:25]
.LBB65_11:                              ;   Parent Loop BB65_6 Depth=1
                                        ;     Parent Loop BB65_9 Depth=2
                                        ; =>    This Inner Loop Header: Depth=3
	global_load_b32 v13, v7, s[6:7]
	s_add_i32 s35, s35, 1
	s_add_u32 s6, s6, 8
	s_addc_u32 s7, s7, 0
	s_cmp_ge_u32 s35, s29
	s_waitcnt vmcnt(0)
	v_cmp_eq_u32_e32 vcc_lo, v10, v13
	v_dual_cndmask_b32 v12, v12, v9 :: v_dual_cndmask_b32 v11, v11, v8
	s_cbranch_scc0 .LBB65_11
.LBB65_12:                              ;   in Loop: Header=BB65_9 Depth=2
	s_mov_b32 s7, exec_lo
	s_waitcnt vmcnt(0)
	s_delay_alu instid0(VALU_DEP_1)
	v_cmpx_ngt_f32_e32 v8, v11
	s_cbranch_execz .LBB65_8
; %bb.13:                               ;   in Loop: Header=BB65_9 Depth=2
	v_cmp_eq_f32_e32 vcc_lo, v11, v8
	v_cmp_lt_i32_e64 s6, v9, v12
	s_delay_alu instid0(VALU_DEP_1)
	s_and_b32 vcc_lo, vcc_lo, s6
	v_dual_cndmask_b32 v8, v11, v8 :: v_dual_cndmask_b32 v9, v12, v9
	s_branch .LBB65_8
.LBB65_14:                              ;   in Loop: Header=BB65_6 Depth=1
	s_set_inst_prefetch_distance 0x2
	s_or_b32 exec_lo, exec_lo, s34
.LBB65_15:                              ;   in Loop: Header=BB65_6 Depth=1
	s_delay_alu instid0(SALU_CYCLE_1) | instskip(NEXT) | instid1(VALU_DEP_1)
	s_or_b32 exec_lo, exec_lo, s31
	v_mov_b32_dpp v10, v8 quad_perm:[1,0,3,2] row_mask:0xf bank_mask:0xf
	v_mov_b32_dpp v11, v9 quad_perm:[1,0,3,2] row_mask:0xf bank_mask:0xf
	s_delay_alu instid0(VALU_DEP_2) | instskip(NEXT) | instid1(VALU_DEP_2)
	v_cmp_eq_f32_e32 vcc_lo, v8, v10
	v_cmp_lt_i32_e64 s6, v9, v11
	s_delay_alu instid0(VALU_DEP_1) | instskip(SKIP_2) | instid1(VALU_DEP_2)
	s_and_b32 vcc_lo, vcc_lo, s6
	v_cmp_gt_f32_e64 s6, v8, v10
	v_cndmask_b32_e32 v12, v10, v8, vcc_lo
	s_or_b32 vcc_lo, s6, vcc_lo
	v_cndmask_b32_e32 v9, v11, v9, vcc_lo
	s_delay_alu instid0(VALU_DEP_2) | instskip(NEXT) | instid1(VALU_DEP_2)
	v_cndmask_b32_e64 v8, v12, v8, s6
	v_mov_b32_dpp v11, v9 quad_perm:[2,3,0,1] row_mask:0xf bank_mask:0xf
	s_delay_alu instid0(VALU_DEP_2) | instskip(NEXT) | instid1(VALU_DEP_2)
	v_mov_b32_dpp v10, v8 quad_perm:[2,3,0,1] row_mask:0xf bank_mask:0xf
	v_cmp_lt_i32_e64 s6, v9, v11
	s_delay_alu instid0(VALU_DEP_2) | instskip(NEXT) | instid1(VALU_DEP_2)
	v_cmp_eq_f32_e32 vcc_lo, v8, v10
	s_and_b32 vcc_lo, vcc_lo, s6
	v_cmp_gt_f32_e64 s6, v8, v10
	v_cndmask_b32_e32 v12, v10, v8, vcc_lo
	s_delay_alu instid0(VALU_DEP_2) | instskip(SKIP_1) | instid1(VALU_DEP_2)
	s_or_b32 vcc_lo, s6, vcc_lo
	v_cndmask_b32_e32 v9, v11, v9, vcc_lo
	v_cndmask_b32_e64 v8, v12, v8, s6
	s_delay_alu instid0(VALU_DEP_2) | instskip(NEXT) | instid1(VALU_DEP_2)
	v_mov_b32_dpp v11, v9 row_ror:4 row_mask:0xf bank_mask:0xf
	v_mov_b32_dpp v10, v8 row_ror:4 row_mask:0xf bank_mask:0xf
	s_delay_alu instid0(VALU_DEP_2) | instskip(NEXT) | instid1(VALU_DEP_2)
	v_cmp_lt_i32_e64 s6, v9, v11
	v_cmp_eq_f32_e32 vcc_lo, v8, v10
	s_delay_alu instid0(VALU_DEP_2) | instskip(SKIP_2) | instid1(VALU_DEP_2)
	s_and_b32 vcc_lo, vcc_lo, s6
	v_cmp_gt_f32_e64 s6, v8, v10
	v_cndmask_b32_e32 v12, v10, v8, vcc_lo
	s_or_b32 vcc_lo, s6, vcc_lo
	v_cndmask_b32_e32 v9, v11, v9, vcc_lo
	s_delay_alu instid0(VALU_DEP_2) | instskip(NEXT) | instid1(VALU_DEP_2)
	v_cndmask_b32_e64 v8, v12, v8, s6
	v_mov_b32_dpp v11, v9 row_ror:8 row_mask:0xf bank_mask:0xf
	s_delay_alu instid0(VALU_DEP_2) | instskip(NEXT) | instid1(VALU_DEP_2)
	v_mov_b32_dpp v10, v8 row_ror:8 row_mask:0xf bank_mask:0xf
	v_cmp_lt_i32_e64 s6, v9, v11
	s_delay_alu instid0(VALU_DEP_2) | instskip(NEXT) | instid1(VALU_DEP_2)
	v_cmp_eq_f32_e32 vcc_lo, v8, v10
	s_and_b32 vcc_lo, vcc_lo, s6
	v_cmp_gt_f32_e64 s6, v8, v10
	v_cndmask_b32_e32 v12, v10, v8, vcc_lo
	s_delay_alu instid0(VALU_DEP_2) | instskip(SKIP_1) | instid1(VALU_DEP_2)
	s_or_b32 vcc_lo, s6, vcc_lo
	v_cndmask_b32_e32 v9, v11, v9, vcc_lo
	v_cndmask_b32_e64 v8, v12, v8, s6
	ds_swizzle_b32 v11, v9 offset:swizzle(BROADCAST,32,15)
	ds_swizzle_b32 v10, v8 offset:swizzle(BROADCAST,32,15)
	s_waitcnt lgkmcnt(0)
	v_cmp_lt_i32_e64 s6, v9, v11
	v_cmp_eq_f32_e32 vcc_lo, v8, v10
	s_delay_alu instid0(VALU_DEP_2) | instskip(SKIP_2) | instid1(VALU_DEP_2)
	s_and_b32 vcc_lo, vcc_lo, s6
	v_cmp_gt_f32_e64 s6, v8, v10
	v_cndmask_b32_e32 v12, v10, v8, vcc_lo
	s_or_b32 vcc_lo, s6, vcc_lo
	v_cndmask_b32_e32 v9, v11, v9, vcc_lo
	s_delay_alu instid0(VALU_DEP_2)
	v_cndmask_b32_e64 v8, v12, v8, s6
	ds_bpermute_b32 v9, v1, v9
	ds_bpermute_b32 v8, v1, v8
	s_and_saveexec_b32 s6, s3
	s_cbranch_execz .LBB65_17
; %bb.16:                               ;   in Loop: Header=BB65_6 Depth=1
	s_waitcnt lgkmcnt(0)
	ds_store_2addr_b32 v2, v9, v8 offset1:1
.LBB65_17:                              ;   in Loop: Header=BB65_6 Depth=1
	s_or_b32 exec_lo, exec_lo, s6
	s_waitcnt lgkmcnt(0)
	s_waitcnt_vscnt null, 0x0
	s_barrier
	buffer_gl0_inv
	s_and_saveexec_b32 s31, s4
	s_cbranch_execz .LBB65_19
; %bb.18:                               ;   in Loop: Header=BB65_6 Depth=1
	ds_load_2addr_b32 v[8:9], v3 offset1:1
	s_waitcnt lgkmcnt(0)
	ds_bpermute_b32 v10, v4, v9
	ds_bpermute_b32 v11, v4, v8
	s_waitcnt lgkmcnt(1)
	v_cmp_eq_f32_e32 vcc_lo, v9, v10
	s_waitcnt lgkmcnt(0)
	v_cmp_lt_i32_e64 s6, v11, v8
	v_cmp_lt_f32_e64 s7, v9, v10
	s_delay_alu instid0(VALU_DEP_2)
	s_and_b32 s6, vcc_lo, s6
	s_delay_alu instid0(VALU_DEP_1) | instid1(SALU_CYCLE_1)
	s_or_b32 vcc_lo, s7, s6
	v_dual_cndmask_b32 v9, v9, v10 :: v_dual_cndmask_b32 v8, v8, v11
	ds_bpermute_b32 v10, v5, v9
	ds_bpermute_b32 v11, v5, v8
	s_waitcnt lgkmcnt(1)
	v_cmp_eq_f32_e32 vcc_lo, v9, v10
	s_waitcnt lgkmcnt(0)
	v_cmp_lt_i32_e64 s6, v11, v8
	v_cmp_lt_f32_e64 s7, v9, v10
	s_delay_alu instid0(VALU_DEP_2)
	s_and_b32 s6, vcc_lo, s6
	s_delay_alu instid0(VALU_DEP_1) | instid1(SALU_CYCLE_1)
	s_or_b32 vcc_lo, s7, s6
	v_dual_cndmask_b32 v9, v9, v10 :: v_dual_cndmask_b32 v10, v8, v11
	;; [unrolled: 12-line block ×3, first 2 shown]
.LBB65_19:                              ;   in Loop: Header=BB65_6 Depth=1
	s_or_b32 exec_lo, exec_lo, s31
	s_mov_b32 s31, -1
	s_mov_b32 s7, -1
                                        ; implicit-def: $sgpr6
	s_and_saveexec_b32 s33, s5
	s_cbranch_execz .LBB65_23
; %bb.20:                               ;   in Loop: Header=BB65_6 Depth=1
	v_cmp_le_i32_e32 vcc_lo, s10, v9
	v_cmp_gt_i32_e64 s6, s11, v9
	v_subrev_nc_u32_e32 v9, s10, v9
	s_add_i32 s34, s29, s18
	s_delay_alu instid0(SALU_CYCLE_1) | instskip(NEXT) | instid1(VALU_DEP_2)
	s_ashr_i32 s35, s34, 31
	s_and_b32 s36, vcc_lo, s6
	s_lshl_b64 s[6:7], s[34:35], 2
	s_and_b32 vcc_lo, s14, s36
	s_add_u32 s36, s20, s6
	v_cndmask_b32_e32 v9, s8, v9, vcc_lo
	s_addc_u32 s37, s21, s7
	s_lshl_b64 s[34:35], s[34:35], 3
	s_delay_alu instid0(SALU_CYCLE_1) | instskip(NEXT) | instid1(VALU_DEP_1)
	s_add_u32 s38, s22, s34
	v_ashrrev_i32_e32 v10, 31, v9
	s_addc_u32 s39, s23, s35
	s_mov_b32 s34, 0
	s_mov_b32 s35, exec_lo
	s_clause 0x1
	global_store_b32 v7, v8, s[36:37]
	global_store_b64 v7, v[9:10], s[38:39]
	v_cmpx_lt_i32_e32 -1, v9
	s_cbranch_execz .LBB65_22
; %bb.21:                               ;   in Loop: Header=BB65_6 Depth=1
	s_mul_i32 s36, s29, s26
	s_mov_b32 s34, exec_lo
	s_add_i32 s36, s36, s15
	s_add_u32 s6, s12, s6
	v_mov_b32_e32 v8, s36
	s_addc_u32 s7, s13, s7
	global_store_b32 v7, v8, s[6:7]
.LBB65_22:                              ;   in Loop: Header=BB65_6 Depth=1
	s_or_b32 exec_lo, exec_lo, s35
	s_mov_b32 s6, -1
	s_or_not1_b32 s7, s34, exec_lo
.LBB65_23:                              ;   in Loop: Header=BB65_6 Depth=1
	s_or_b32 exec_lo, exec_lo, s33
	s_delay_alu instid0(SALU_CYCLE_1) | instskip(SKIP_1) | instid1(SALU_CYCLE_1)
	s_and_not1_b32 s30, s30, exec_lo
	s_and_b32 s6, s6, exec_lo
	s_or_b32 s30, s30, s6
	s_and_saveexec_b32 s6, s7
	s_cbranch_execz .LBB65_5
; %bb.24:                               ;   in Loop: Header=BB65_6 Depth=1
	s_add_i32 s29, s29, 1
	s_waitcnt_vscnt null, 0x0
	s_cmp_eq_u32 s29, s9
	s_barrier
	s_cselect_b32 s7, -1, 0
	s_and_not1_b32 s30, s30, exec_lo
	s_or_not1_b32 s31, s7, exec_lo
	buffer_gl0_inv
	s_branch .LBB65_5
.LBB65_25:
	s_or_b32 exec_lo, exec_lo, s28
	s_and_saveexec_b32 s2, s19
	s_delay_alu instid0(SALU_CYCLE_1)
	s_xor_b32 s2, exec_lo, s2
	s_cbranch_execz .LBB65_2
; %bb.26:
	s_add_u32 s8, s0, 56
	s_addc_u32 s9, s1, 0
	s_getpc_b64 s[0:1]
	s_add_u32 s0, s0, __PRETTY_FUNCTION__._ZN4vllm3moe7moeTopKILi256ElEEvPKfPKbPfPT0_Piiiii@rel32@lo+4
	s_addc_u32 s1, s1, __PRETTY_FUNCTION__._ZN4vllm3moe7moeTopKILi256ElEEvPKfPKbPfPT0_Piiiii@rel32@hi+12
	s_delay_alu instid0(SALU_CYCLE_1) | instskip(SKIP_3) | instid1(SALU_CYCLE_1)
	v_dual_mov_b32 v0, s0 :: v_dual_mov_b32 v1, s1
	s_getpc_b64 s[2:3]
	s_add_u32 s2, s2, __assert_fail@rel32@lo+4
	s_addc_u32 s3, s3, __assert_fail@rel32@hi+12
	s_swappc_b64 s[30:31], s[2:3]
	; divergent unreachable
	s_endpgm
	.section	.rodata,"a",@progbits
	.p2align	6, 0x0
	.amdhsa_kernel _ZN4vllm3moe7moeTopKILi256ElEEvPKfPKbPfPT0_Piiiii
		.amdhsa_group_segment_fixed_size 64
		.amdhsa_private_segment_fixed_size 64
		.amdhsa_kernarg_size 312
		.amdhsa_user_sgpr_count 15
		.amdhsa_user_sgpr_dispatch_ptr 0
		.amdhsa_user_sgpr_queue_ptr 0
		.amdhsa_user_sgpr_kernarg_segment_ptr 1
		.amdhsa_user_sgpr_dispatch_id 0
		.amdhsa_user_sgpr_private_segment_size 0
		.amdhsa_wavefront_size32 1
		.amdhsa_uses_dynamic_stack 0
		.amdhsa_enable_private_segment 1
		.amdhsa_system_sgpr_workgroup_id_x 1
		.amdhsa_system_sgpr_workgroup_id_y 0
		.amdhsa_system_sgpr_workgroup_id_z 0
		.amdhsa_system_sgpr_workgroup_info 0
		.amdhsa_system_vgpr_workitem_id 0
		.amdhsa_next_free_vgpr 41
		.amdhsa_next_free_sgpr 40
		.amdhsa_reserve_vcc 1
		.amdhsa_float_round_mode_32 0
		.amdhsa_float_round_mode_16_64 0
		.amdhsa_float_denorm_mode_32 3
		.amdhsa_float_denorm_mode_16_64 3
		.amdhsa_dx10_clamp 1
		.amdhsa_ieee_mode 1
		.amdhsa_fp16_overflow 0
		.amdhsa_workgroup_processor_mode 1
		.amdhsa_memory_ordered 1
		.amdhsa_forward_progress 0
		.amdhsa_shared_vgpr_count 0
		.amdhsa_exception_fp_ieee_invalid_op 0
		.amdhsa_exception_fp_denorm_src 0
		.amdhsa_exception_fp_ieee_div_zero 0
		.amdhsa_exception_fp_ieee_overflow 0
		.amdhsa_exception_fp_ieee_underflow 0
		.amdhsa_exception_fp_ieee_inexact 0
		.amdhsa_exception_int_div_zero 0
	.end_amdhsa_kernel
	.section	.text._ZN4vllm3moe7moeTopKILi256ElEEvPKfPKbPfPT0_Piiiii,"axG",@progbits,_ZN4vllm3moe7moeTopKILi256ElEEvPKfPKbPfPT0_Piiiii,comdat
.Lfunc_end65:
	.size	_ZN4vllm3moe7moeTopKILi256ElEEvPKfPKbPfPT0_Piiiii, .Lfunc_end65-_ZN4vllm3moe7moeTopKILi256ElEEvPKfPKbPfPT0_Piiiii
                                        ; -- End function
	.section	.AMDGPU.csdata,"",@progbits
; Kernel info:
; codeLenInByte = 1596
; NumSgprs: 42
; NumVgprs: 41
; ScratchSize: 64
; MemoryBound: 0
; FloatMode: 240
; IeeeMode: 1
; LDSByteSize: 64 bytes/workgroup (compile time only)
; SGPRBlocks: 5
; VGPRBlocks: 5
; NumSGPRsForWavesPerEU: 42
; NumVGPRsForWavesPerEU: 41
; Occupancy: 16
; WaveLimiterHint : 1
; COMPUTE_PGM_RSRC2:SCRATCH_EN: 1
; COMPUTE_PGM_RSRC2:USER_SGPR: 15
; COMPUTE_PGM_RSRC2:TRAP_HANDLER: 0
; COMPUTE_PGM_RSRC2:TGID_X_EN: 1
; COMPUTE_PGM_RSRC2:TGID_Y_EN: 0
; COMPUTE_PGM_RSRC2:TGID_Z_EN: 0
; COMPUTE_PGM_RSRC2:TIDIG_COMP_CNT: 0
	.text
	.p2alignl 7, 3214868480
	.fill 96, 4, 3214868480
	.type	__const.__assert_fail.fmt,@object ; @__const.__assert_fail.fmt
	.section	.rodata.str1.16,"aMS",@progbits,1
	.p2align	4, 0x0
__const.__assert_fail.fmt:
	.asciz	"%s:%u: %s: Device-side assertion `%s' failed.\n"
	.size	__const.__assert_fail.fmt, 47

	.type	.str.1,@object                  ; @.str.1
	.section	.rodata.str1.1,"aMS",@progbits,1
.str.1:
	.asciz	"indices[idx] >= 0"
	.size	.str.1, 18

	.type	.str.2,@object                  ; @.str.2
.str.2:
	.asciz	"/root/src/amdgpu-assembly/repos/ROCm__vllm/csrc/moe/topk_softmax_kernels.hip"
	.size	.str.2, 77

	.type	__PRETTY_FUNCTION__._ZN4vllm3moe7moeTopKILi256EiEEvPKfPKbPfPT0_Piiiii,@object ; @__PRETTY_FUNCTION__._ZN4vllm3moe7moeTopKILi256EiEEvPKfPKbPfPT0_Piiiii
__PRETTY_FUNCTION__._ZN4vllm3moe7moeTopKILi256EiEEvPKfPKbPfPT0_Piiiii:
	.asciz	"void vllm::moe::moeTopK(const float *, const bool *, float *, IndType *, int *, const int, const int, const int, const int) [TPB = 256, IndType = int]"
	.size	__PRETTY_FUNCTION__._ZN4vllm3moe7moeTopKILi256EiEEvPKfPKbPfPT0_Piiiii, 151

	.type	__PRETTY_FUNCTION__._ZN4vllm3moe7moeTopKILi256ElEEvPKfPKbPfPT0_Piiiii,@object ; @__PRETTY_FUNCTION__._ZN4vllm3moe7moeTopKILi256ElEEvPKfPKbPfPT0_Piiiii
__PRETTY_FUNCTION__._ZN4vllm3moe7moeTopKILi256ElEEvPKfPKbPfPT0_Piiiii:
	.asciz	"void vllm::moe::moeTopK(const float *, const bool *, float *, IndType *, int *, const int, const int, const int, const int) [TPB = 256, IndType = long]"
	.size	__PRETTY_FUNCTION__._ZN4vllm3moe7moeTopKILi256ElEEvPKfPKbPfPT0_Piiiii, 152

	.type	__hip_cuid_4402d257679188d9,@object ; @__hip_cuid_4402d257679188d9
	.section	.bss,"aw",@nobits
	.globl	__hip_cuid_4402d257679188d9
__hip_cuid_4402d257679188d9:
	.byte	0                               ; 0x0
	.size	__hip_cuid_4402d257679188d9, 1

	.ident	"AMD clang version 19.0.0git (https://github.com/RadeonOpenCompute/llvm-project roc-6.4.0 25133 c7fe45cf4b819c5991fe208aaa96edf142730f1d)"
	.section	".note.GNU-stack","",@progbits
	.addrsig
	.addrsig_sym __hip_cuid_4402d257679188d9
	.amdgpu_metadata
---
amdhsa.kernels:
  - .args:
      - .address_space:  global
        .offset:         0
        .size:           8
        .value_kind:     global_buffer
      - .address_space:  global
        .offset:         8
        .size:           8
        .value_kind:     global_buffer
      - .address_space:  global
        .offset:         16
        .size:           8
        .value_kind:     global_buffer
      - .offset:         24
        .size:           4
        .value_kind:     by_value
      - .address_space:  global
        .offset:         32
        .size:           8
        .value_kind:     global_buffer
      - .address_space:  global
        .offset:         40
        .size:           8
        .value_kind:     global_buffer
      - .offset:         48
        .size:           4
        .value_kind:     by_value
      - .offset:         52
        .size:           4
        .value_kind:     by_value
      - .offset:         56
        .size:           4
        .value_kind:     by_value
    .group_segment_fixed_size: 0
    .kernarg_segment_align: 8
    .kernarg_segment_size: 60
    .language:       OpenCL C
    .language_version:
      - 2
      - 0
    .max_flat_workgroup_size: 256
    .name:           _ZN4vllm3moe17topkGatingSoftmaxILi1ELi1ELi4ELi4ELi64EiEEvPKfPKbPfiPT4_Piiii
    .private_segment_fixed_size: 0
    .sgpr_count:     18
    .sgpr_spill_count: 0
    .symbol:         _ZN4vllm3moe17topkGatingSoftmaxILi1ELi1ELi4ELi4ELi64EiEEvPKfPKbPfiPT4_Piiii.kd
    .uniform_work_group_size: 1
    .uses_dynamic_stack: false
    .vgpr_count:     10
    .vgpr_spill_count: 0
    .wavefront_size: 32
    .workgroup_processor_mode: 1
  - .args:
      - .address_space:  global
        .offset:         0
        .size:           8
        .value_kind:     global_buffer
      - .address_space:  global
        .offset:         8
        .size:           8
        .value_kind:     global_buffer
      - .address_space:  global
        .offset:         16
        .size:           8
        .value_kind:     global_buffer
      - .offset:         24
        .size:           4
        .value_kind:     by_value
      - .address_space:  global
        .offset:         32
        .size:           8
        .value_kind:     global_buffer
      - .address_space:  global
        .offset:         40
        .size:           8
        .value_kind:     global_buffer
      - .offset:         48
        .size:           4
        .value_kind:     by_value
      - .offset:         52
        .size:           4
        .value_kind:     by_value
      - .offset:         56
        .size:           4
        .value_kind:     by_value
    .group_segment_fixed_size: 0
    .kernarg_segment_align: 8
    .kernarg_segment_size: 60
    .language:       OpenCL C
    .language_version:
      - 2
      - 0
    .max_flat_workgroup_size: 128
    .name:           _ZN4vllm3moe17topkGatingSoftmaxILi1ELi1ELi4ELi4ELi32EiEEvPKfPKbPfiPT4_Piiii
    .private_segment_fixed_size: 0
    .sgpr_count:     18
    .sgpr_spill_count: 0
    .symbol:         _ZN4vllm3moe17topkGatingSoftmaxILi1ELi1ELi4ELi4ELi32EiEEvPKfPKbPfiPT4_Piiii.kd
    .uniform_work_group_size: 1
    .uses_dynamic_stack: false
    .vgpr_count:     10
    .vgpr_spill_count: 0
    .wavefront_size: 32
    .workgroup_processor_mode: 1
  - .args:
      - .address_space:  global
        .offset:         0
        .size:           8
        .value_kind:     global_buffer
      - .address_space:  global
        .offset:         8
        .size:           8
        .value_kind:     global_buffer
      - .address_space:  global
        .offset:         16
        .size:           8
        .value_kind:     global_buffer
      - .offset:         24
        .size:           4
        .value_kind:     by_value
      - .address_space:  global
        .offset:         32
        .size:           8
        .value_kind:     global_buffer
      - .address_space:  global
        .offset:         40
        .size:           8
        .value_kind:     global_buffer
      - .offset:         48
        .size:           4
        .value_kind:     by_value
      - .offset:         52
        .size:           4
        .value_kind:     by_value
      - .offset:         56
        .size:           4
        .value_kind:     by_value
    .group_segment_fixed_size: 0
    .kernarg_segment_align: 8
    .kernarg_segment_size: 60
    .language:       OpenCL C
    .language_version:
      - 2
      - 0
    .max_flat_workgroup_size: 256
    .name:           _ZN4vllm3moe17topkGatingSoftmaxILi2ELi2ELi4ELi8ELi64EiEEvPKfPKbPfiPT4_Piiii
    .private_segment_fixed_size: 0
    .sgpr_count:     18
    .sgpr_spill_count: 0
    .symbol:         _ZN4vllm3moe17topkGatingSoftmaxILi2ELi2ELi4ELi8ELi64EiEEvPKfPKbPfiPT4_Piiii.kd
    .uniform_work_group_size: 1
    .uses_dynamic_stack: false
    .vgpr_count:     12
    .vgpr_spill_count: 0
    .wavefront_size: 32
    .workgroup_processor_mode: 1
  - .args:
      - .address_space:  global
        .offset:         0
        .size:           8
        .value_kind:     global_buffer
      - .address_space:  global
        .offset:         8
        .size:           8
        .value_kind:     global_buffer
      - .address_space:  global
        .offset:         16
        .size:           8
        .value_kind:     global_buffer
      - .offset:         24
        .size:           4
        .value_kind:     by_value
      - .address_space:  global
        .offset:         32
        .size:           8
        .value_kind:     global_buffer
      - .address_space:  global
        .offset:         40
        .size:           8
        .value_kind:     global_buffer
      - .offset:         48
        .size:           4
        .value_kind:     by_value
      - .offset:         52
        .size:           4
        .value_kind:     by_value
      - .offset:         56
        .size:           4
        .value_kind:     by_value
    .group_segment_fixed_size: 0
    .kernarg_segment_align: 8
    .kernarg_segment_size: 60
    .language:       OpenCL C
    .language_version:
      - 2
      - 0
    .max_flat_workgroup_size: 128
    .name:           _ZN4vllm3moe17topkGatingSoftmaxILi2ELi2ELi4ELi8ELi32EiEEvPKfPKbPfiPT4_Piiii
    .private_segment_fixed_size: 0
    .sgpr_count:     18
    .sgpr_spill_count: 0
    .symbol:         _ZN4vllm3moe17topkGatingSoftmaxILi2ELi2ELi4ELi8ELi32EiEEvPKfPKbPfiPT4_Piiii.kd
    .uniform_work_group_size: 1
    .uses_dynamic_stack: false
    .vgpr_count:     12
    .vgpr_spill_count: 0
    .wavefront_size: 32
    .workgroup_processor_mode: 1
  - .args:
      - .address_space:  global
        .offset:         0
        .size:           8
        .value_kind:     global_buffer
      - .address_space:  global
        .offset:         8
        .size:           8
        .value_kind:     global_buffer
      - .address_space:  global
        .offset:         16
        .size:           8
        .value_kind:     global_buffer
      - .offset:         24
        .size:           4
        .value_kind:     by_value
      - .address_space:  global
        .offset:         32
        .size:           8
        .value_kind:     global_buffer
      - .address_space:  global
        .offset:         40
        .size:           8
        .value_kind:     global_buffer
      - .offset:         48
        .size:           4
        .value_kind:     by_value
      - .offset:         52
        .size:           4
        .value_kind:     by_value
      - .offset:         56
        .size:           4
        .value_kind:     by_value
    .group_segment_fixed_size: 4096
    .kernarg_segment_align: 8
    .kernarg_segment_size: 60
    .language:       OpenCL C
    .language_version:
      - 2
      - 0
    .max_flat_workgroup_size: 256
    .name:           _ZN4vllm3moe17topkGatingSoftmaxILi4ELi4ELi4ELi16ELi64EiEEvPKfPKbPfiPT4_Piiii
    .private_segment_fixed_size: 0
    .sgpr_count:     18
    .sgpr_spill_count: 0
    .symbol:         _ZN4vllm3moe17topkGatingSoftmaxILi4ELi4ELi4ELi16ELi64EiEEvPKfPKbPfiPT4_Piiii.kd
    .uniform_work_group_size: 1
    .uses_dynamic_stack: false
    .vgpr_count:     20
    .vgpr_spill_count: 0
    .wavefront_size: 32
    .workgroup_processor_mode: 1
  - .args:
      - .address_space:  global
        .offset:         0
        .size:           8
        .value_kind:     global_buffer
      - .address_space:  global
        .offset:         8
        .size:           8
        .value_kind:     global_buffer
      - .address_space:  global
        .offset:         16
        .size:           8
        .value_kind:     global_buffer
      - .offset:         24
        .size:           4
        .value_kind:     by_value
      - .address_space:  global
        .offset:         32
        .size:           8
        .value_kind:     global_buffer
      - .address_space:  global
        .offset:         40
        .size:           8
        .value_kind:     global_buffer
      - .offset:         48
        .size:           4
        .value_kind:     by_value
      - .offset:         52
        .size:           4
        .value_kind:     by_value
      - .offset:         56
        .size:           4
        .value_kind:     by_value
    .group_segment_fixed_size: 2048
    .kernarg_segment_align: 8
    .kernarg_segment_size: 60
    .language:       OpenCL C
    .language_version:
      - 2
      - 0
    .max_flat_workgroup_size: 128
    .name:           _ZN4vllm3moe17topkGatingSoftmaxILi4ELi4ELi4ELi16ELi32EiEEvPKfPKbPfiPT4_Piiii
    .private_segment_fixed_size: 0
    .sgpr_count:     18
    .sgpr_spill_count: 0
    .symbol:         _ZN4vllm3moe17topkGatingSoftmaxILi4ELi4ELi4ELi16ELi32EiEEvPKfPKbPfiPT4_Piiii.kd
    .uniform_work_group_size: 1
    .uses_dynamic_stack: false
    .vgpr_count:     20
    .vgpr_spill_count: 0
    .wavefront_size: 32
    .workgroup_processor_mode: 1
  - .args:
      - .address_space:  global
        .offset:         0
        .size:           8
        .value_kind:     global_buffer
      - .address_space:  global
        .offset:         8
        .size:           8
        .value_kind:     global_buffer
      - .address_space:  global
        .offset:         16
        .size:           8
        .value_kind:     global_buffer
      - .offset:         24
        .size:           4
        .value_kind:     by_value
      - .address_space:  global
        .offset:         32
        .size:           8
        .value_kind:     global_buffer
      - .address_space:  global
        .offset:         40
        .size:           8
        .value_kind:     global_buffer
      - .offset:         48
        .size:           4
        .value_kind:     by_value
      - .offset:         52
        .size:           4
        .value_kind:     by_value
      - .offset:         56
        .size:           4
        .value_kind:     by_value
    .group_segment_fixed_size: 4096
    .kernarg_segment_align: 8
    .kernarg_segment_size: 60
    .language:       OpenCL C
    .language_version:
      - 2
      - 0
    .max_flat_workgroup_size: 256
    .name:           _ZN4vllm3moe17topkGatingSoftmaxILi4ELi8ELi4ELi16ELi64EiEEvPKfPKbPfiPT4_Piiii
    .private_segment_fixed_size: 0
    .sgpr_count:     18
    .sgpr_spill_count: 0
    .symbol:         _ZN4vllm3moe17topkGatingSoftmaxILi4ELi8ELi4ELi16ELi64EiEEvPKfPKbPfiPT4_Piiii.kd
    .uniform_work_group_size: 1
    .uses_dynamic_stack: false
    .vgpr_count:     22
    .vgpr_spill_count: 0
    .wavefront_size: 32
    .workgroup_processor_mode: 1
  - .args:
      - .address_space:  global
        .offset:         0
        .size:           8
        .value_kind:     global_buffer
      - .address_space:  global
        .offset:         8
        .size:           8
        .value_kind:     global_buffer
      - .address_space:  global
        .offset:         16
        .size:           8
        .value_kind:     global_buffer
      - .offset:         24
        .size:           4
        .value_kind:     by_value
      - .address_space:  global
        .offset:         32
        .size:           8
        .value_kind:     global_buffer
      - .address_space:  global
        .offset:         40
        .size:           8
        .value_kind:     global_buffer
      - .offset:         48
        .size:           4
        .value_kind:     by_value
      - .offset:         52
        .size:           4
        .value_kind:     by_value
      - .offset:         56
        .size:           4
        .value_kind:     by_value
    .group_segment_fixed_size: 2048
    .kernarg_segment_align: 8
    .kernarg_segment_size: 60
    .language:       OpenCL C
    .language_version:
      - 2
      - 0
    .max_flat_workgroup_size: 128
    .name:           _ZN4vllm3moe17topkGatingSoftmaxILi4ELi8ELi4ELi16ELi32EiEEvPKfPKbPfiPT4_Piiii
    .private_segment_fixed_size: 0
    .sgpr_count:     18
    .sgpr_spill_count: 0
    .symbol:         _ZN4vllm3moe17topkGatingSoftmaxILi4ELi8ELi4ELi16ELi32EiEEvPKfPKbPfiPT4_Piiii.kd
    .uniform_work_group_size: 1
    .uses_dynamic_stack: false
    .vgpr_count:     22
    .vgpr_spill_count: 0
    .wavefront_size: 32
    .workgroup_processor_mode: 1
  - .args:
      - .address_space:  global
        .offset:         0
        .size:           8
        .value_kind:     global_buffer
      - .address_space:  global
        .offset:         8
        .size:           8
        .value_kind:     global_buffer
      - .address_space:  global
        .offset:         16
        .size:           8
        .value_kind:     global_buffer
      - .offset:         24
        .size:           4
        .value_kind:     by_value
      - .address_space:  global
        .offset:         32
        .size:           8
        .value_kind:     global_buffer
      - .address_space:  global
        .offset:         40
        .size:           8
        .value_kind:     global_buffer
      - .offset:         48
        .size:           4
        .value_kind:     by_value
      - .offset:         52
        .size:           4
        .value_kind:     by_value
      - .offset:         56
        .size:           4
        .value_kind:     by_value
    .group_segment_fixed_size: 4096
    .kernarg_segment_align: 8
    .kernarg_segment_size: 60
    .language:       OpenCL C
    .language_version:
      - 2
      - 0
    .max_flat_workgroup_size: 256
    .name:           _ZN4vllm3moe17topkGatingSoftmaxILi4ELi16ELi4ELi16ELi64EiEEvPKfPKbPfiPT4_Piiii
    .private_segment_fixed_size: 0
    .sgpr_count:     18
    .sgpr_spill_count: 0
    .symbol:         _ZN4vllm3moe17topkGatingSoftmaxILi4ELi16ELi4ELi16ELi64EiEEvPKfPKbPfiPT4_Piiii.kd
    .uniform_work_group_size: 1
    .uses_dynamic_stack: false
    .vgpr_count:     23
    .vgpr_spill_count: 0
    .wavefront_size: 32
    .workgroup_processor_mode: 1
  - .args:
      - .address_space:  global
        .offset:         0
        .size:           8
        .value_kind:     global_buffer
      - .address_space:  global
        .offset:         8
        .size:           8
        .value_kind:     global_buffer
      - .address_space:  global
        .offset:         16
        .size:           8
        .value_kind:     global_buffer
      - .offset:         24
        .size:           4
        .value_kind:     by_value
      - .address_space:  global
        .offset:         32
        .size:           8
        .value_kind:     global_buffer
      - .address_space:  global
        .offset:         40
        .size:           8
        .value_kind:     global_buffer
      - .offset:         48
        .size:           4
        .value_kind:     by_value
      - .offset:         52
        .size:           4
        .value_kind:     by_value
      - .offset:         56
        .size:           4
        .value_kind:     by_value
    .group_segment_fixed_size: 2048
    .kernarg_segment_align: 8
    .kernarg_segment_size: 60
    .language:       OpenCL C
    .language_version:
      - 2
      - 0
    .max_flat_workgroup_size: 128
    .name:           _ZN4vllm3moe17topkGatingSoftmaxILi4ELi16ELi4ELi16ELi32EiEEvPKfPKbPfiPT4_Piiii
    .private_segment_fixed_size: 0
    .sgpr_count:     18
    .sgpr_spill_count: 0
    .symbol:         _ZN4vllm3moe17topkGatingSoftmaxILi4ELi16ELi4ELi16ELi32EiEEvPKfPKbPfiPT4_Piiii.kd
    .uniform_work_group_size: 1
    .uses_dynamic_stack: false
    .vgpr_count:     23
    .vgpr_spill_count: 0
    .wavefront_size: 32
    .workgroup_processor_mode: 1
  - .args:
      - .address_space:  global
        .offset:         0
        .size:           8
        .value_kind:     global_buffer
      - .address_space:  global
        .offset:         8
        .size:           8
        .value_kind:     global_buffer
      - .address_space:  global
        .offset:         16
        .size:           8
        .value_kind:     global_buffer
      - .offset:         24
        .size:           4
        .value_kind:     by_value
      - .address_space:  global
        .offset:         32
        .size:           8
        .value_kind:     global_buffer
      - .address_space:  global
        .offset:         40
        .size:           8
        .value_kind:     global_buffer
      - .offset:         48
        .size:           4
        .value_kind:     by_value
      - .offset:         52
        .size:           4
        .value_kind:     by_value
      - .offset:         56
        .size:           4
        .value_kind:     by_value
    .group_segment_fixed_size: 4096
    .kernarg_segment_align: 8
    .kernarg_segment_size: 60
    .language:       OpenCL C
    .language_version:
      - 2
      - 0
    .max_flat_workgroup_size: 256
    .name:           _ZN4vllm3moe17topkGatingSoftmaxILi4ELi32ELi4ELi16ELi64EiEEvPKfPKbPfiPT4_Piiii
    .private_segment_fixed_size: 0
    .sgpr_count:     18
    .sgpr_spill_count: 0
    .symbol:         _ZN4vllm3moe17topkGatingSoftmaxILi4ELi32ELi4ELi16ELi64EiEEvPKfPKbPfiPT4_Piiii.kd
    .uniform_work_group_size: 1
    .uses_dynamic_stack: false
    .vgpr_count:     24
    .vgpr_spill_count: 0
    .wavefront_size: 32
    .workgroup_processor_mode: 1
  - .args:
      - .address_space:  global
        .offset:         0
        .size:           8
        .value_kind:     global_buffer
      - .address_space:  global
        .offset:         8
        .size:           8
        .value_kind:     global_buffer
      - .address_space:  global
        .offset:         16
        .size:           8
        .value_kind:     global_buffer
      - .offset:         24
        .size:           4
        .value_kind:     by_value
      - .address_space:  global
        .offset:         32
        .size:           8
        .value_kind:     global_buffer
      - .address_space:  global
        .offset:         40
        .size:           8
        .value_kind:     global_buffer
      - .offset:         48
        .size:           4
        .value_kind:     by_value
      - .offset:         52
        .size:           4
        .value_kind:     by_value
      - .offset:         56
        .size:           4
        .value_kind:     by_value
    .group_segment_fixed_size: 2048
    .kernarg_segment_align: 8
    .kernarg_segment_size: 60
    .language:       OpenCL C
    .language_version:
      - 2
      - 0
    .max_flat_workgroup_size: 128
    .name:           _ZN4vllm3moe17topkGatingSoftmaxILi4ELi32ELi4ELi16ELi32EiEEvPKfPKbPfiPT4_Piiii
    .private_segment_fixed_size: 0
    .sgpr_count:     18
    .sgpr_spill_count: 0
    .symbol:         _ZN4vllm3moe17topkGatingSoftmaxILi4ELi32ELi4ELi16ELi32EiEEvPKfPKbPfiPT4_Piiii.kd
    .uniform_work_group_size: 1
    .uses_dynamic_stack: false
    .vgpr_count:     24
    .vgpr_spill_count: 0
    .wavefront_size: 32
    .workgroup_processor_mode: 1
  - .args:
      - .address_space:  global
        .offset:         0
        .size:           8
        .value_kind:     global_buffer
      - .address_space:  global
        .offset:         8
        .size:           8
        .value_kind:     global_buffer
      - .address_space:  global
        .offset:         16
        .size:           8
        .value_kind:     global_buffer
      - .offset:         24
        .size:           4
        .value_kind:     by_value
      - .address_space:  global
        .offset:         32
        .size:           8
        .value_kind:     global_buffer
      - .address_space:  global
        .offset:         40
        .size:           8
        .value_kind:     global_buffer
      - .offset:         48
        .size:           4
        .value_kind:     by_value
      - .offset:         52
        .size:           4
        .value_kind:     by_value
      - .offset:         56
        .size:           4
        .value_kind:     by_value
    .group_segment_fixed_size: 4096
    .kernarg_segment_align: 8
    .kernarg_segment_size: 60
    .language:       OpenCL C
    .language_version:
      - 2
      - 0
    .max_flat_workgroup_size: 256
    .name:           _ZN4vllm3moe17topkGatingSoftmaxILi4ELi64ELi4ELi16ELi64EiEEvPKfPKbPfiPT4_Piiii
    .private_segment_fixed_size: 0
    .sgpr_count:     18
    .sgpr_spill_count: 0
    .symbol:         _ZN4vllm3moe17topkGatingSoftmaxILi4ELi64ELi4ELi16ELi64EiEEvPKfPKbPfiPT4_Piiii.kd
    .uniform_work_group_size: 1
    .uses_dynamic_stack: false
    .vgpr_count:     25
    .vgpr_spill_count: 0
    .wavefront_size: 32
    .workgroup_processor_mode: 1
  - .args:
      - .address_space:  global
        .offset:         0
        .size:           8
        .value_kind:     global_buffer
      - .address_space:  global
        .offset:         8
        .size:           8
        .value_kind:     global_buffer
      - .address_space:  global
        .offset:         16
        .size:           8
        .value_kind:     global_buffer
      - .offset:         24
        .size:           4
        .value_kind:     by_value
      - .address_space:  global
        .offset:         32
        .size:           8
        .value_kind:     global_buffer
      - .address_space:  global
        .offset:         40
        .size:           8
        .value_kind:     global_buffer
      - .offset:         48
        .size:           4
        .value_kind:     by_value
      - .offset:         52
        .size:           4
        .value_kind:     by_value
      - .offset:         56
        .size:           4
        .value_kind:     by_value
    .group_segment_fixed_size: 2048
    .kernarg_segment_align: 8
    .kernarg_segment_size: 60
    .language:       OpenCL C
    .language_version:
      - 2
      - 0
    .max_flat_workgroup_size: 128
    .name:           _ZN4vllm3moe17topkGatingSoftmaxILi4ELi64ELi4ELi16ELi32EiEEvPKfPKbPfiPT4_Piiii
    .private_segment_fixed_size: 0
    .sgpr_count:     18
    .sgpr_spill_count: 0
    .symbol:         _ZN4vllm3moe17topkGatingSoftmaxILi4ELi64ELi4ELi16ELi32EiEEvPKfPKbPfiPT4_Piiii.kd
    .uniform_work_group_size: 1
    .uses_dynamic_stack: false
    .vgpr_count:     25
    .vgpr_spill_count: 0
    .wavefront_size: 32
    .workgroup_processor_mode: 1
  - .args:
      - .address_space:  global
        .offset:         0
        .size:           8
        .value_kind:     global_buffer
      - .address_space:  global
        .offset:         8
        .size:           8
        .value_kind:     global_buffer
      - .address_space:  global
        .offset:         16
        .size:           8
        .value_kind:     global_buffer
      - .offset:         24
        .size:           4
        .value_kind:     by_value
      - .address_space:  global
        .offset:         32
        .size:           8
        .value_kind:     global_buffer
      - .address_space:  global
        .offset:         40
        .size:           8
        .value_kind:     global_buffer
      - .offset:         48
        .size:           4
        .value_kind:     by_value
      - .offset:         52
        .size:           4
        .value_kind:     by_value
      - .offset:         56
        .size:           4
        .value_kind:     by_value
    .group_segment_fixed_size: 4096
    .kernarg_segment_align: 8
    .kernarg_segment_size: 60
    .language:       OpenCL C
    .language_version:
      - 2
      - 0
    .max_flat_workgroup_size: 256
    .name:           _ZN4vllm3moe17topkGatingSoftmaxILi4ELi128ELi4ELi16ELi64EiEEvPKfPKbPfiPT4_Piiii
    .private_segment_fixed_size: 0
    .sgpr_count:     18
    .sgpr_spill_count: 0
    .symbol:         _ZN4vllm3moe17topkGatingSoftmaxILi4ELi128ELi4ELi16ELi64EiEEvPKfPKbPfiPT4_Piiii.kd
    .uniform_work_group_size: 1
    .uses_dynamic_stack: false
    .vgpr_count:     26
    .vgpr_spill_count: 0
    .wavefront_size: 32
    .workgroup_processor_mode: 1
  - .args:
      - .address_space:  global
        .offset:         0
        .size:           8
        .value_kind:     global_buffer
      - .address_space:  global
        .offset:         8
        .size:           8
        .value_kind:     global_buffer
      - .address_space:  global
        .offset:         16
        .size:           8
        .value_kind:     global_buffer
      - .offset:         24
        .size:           4
        .value_kind:     by_value
      - .address_space:  global
        .offset:         32
        .size:           8
        .value_kind:     global_buffer
      - .address_space:  global
        .offset:         40
        .size:           8
        .value_kind:     global_buffer
      - .offset:         48
        .size:           4
        .value_kind:     by_value
      - .offset:         52
        .size:           4
        .value_kind:     by_value
      - .offset:         56
        .size:           4
        .value_kind:     by_value
    .group_segment_fixed_size: 2048
    .kernarg_segment_align: 8
    .kernarg_segment_size: 60
    .language:       OpenCL C
    .language_version:
      - 2
      - 0
    .max_flat_workgroup_size: 128
    .name:           _ZN4vllm3moe17topkGatingSoftmaxILi4ELi128ELi4ELi16ELi32EiEEvPKfPKbPfiPT4_Piiii
    .private_segment_fixed_size: 0
    .sgpr_count:     18
    .sgpr_spill_count: 0
    .symbol:         _ZN4vllm3moe17topkGatingSoftmaxILi4ELi128ELi4ELi16ELi32EiEEvPKfPKbPfiPT4_Piiii.kd
    .uniform_work_group_size: 1
    .uses_dynamic_stack: false
    .vgpr_count:     26
    .vgpr_spill_count: 0
    .wavefront_size: 32
    .workgroup_processor_mode: 1
  - .args:
      - .address_space:  global
        .offset:         0
        .size:           8
        .value_kind:     global_buffer
      - .address_space:  global
        .offset:         8
        .size:           8
        .value_kind:     global_buffer
      - .address_space:  global
        .offset:         16
        .size:           8
        .value_kind:     global_buffer
      - .offset:         24
        .size:           4
        .value_kind:     by_value
      - .address_space:  global
        .offset:         32
        .size:           8
        .value_kind:     global_buffer
      - .address_space:  global
        .offset:         40
        .size:           8
        .value_kind:     global_buffer
      - .offset:         48
        .size:           4
        .value_kind:     by_value
      - .offset:         52
        .size:           4
        .value_kind:     by_value
      - .offset:         56
        .size:           4
        .value_kind:     by_value
    .group_segment_fixed_size: 4096
    .kernarg_segment_align: 8
    .kernarg_segment_size: 60
    .language:       OpenCL C
    .language_version:
      - 2
      - 0
    .max_flat_workgroup_size: 256
    .name:           _ZN4vllm3moe17topkGatingSoftmaxILi4ELi256ELi4ELi16ELi64EiEEvPKfPKbPfiPT4_Piiii
    .private_segment_fixed_size: 0
    .sgpr_count:     18
    .sgpr_spill_count: 0
    .symbol:         _ZN4vllm3moe17topkGatingSoftmaxILi4ELi256ELi4ELi16ELi64EiEEvPKfPKbPfiPT4_Piiii.kd
    .uniform_work_group_size: 1
    .uses_dynamic_stack: false
    .vgpr_count:     27
    .vgpr_spill_count: 0
    .wavefront_size: 32
    .workgroup_processor_mode: 1
  - .args:
      - .address_space:  global
        .offset:         0
        .size:           8
        .value_kind:     global_buffer
      - .address_space:  global
        .offset:         8
        .size:           8
        .value_kind:     global_buffer
      - .address_space:  global
        .offset:         16
        .size:           8
        .value_kind:     global_buffer
      - .offset:         24
        .size:           4
        .value_kind:     by_value
      - .address_space:  global
        .offset:         32
        .size:           8
        .value_kind:     global_buffer
      - .address_space:  global
        .offset:         40
        .size:           8
        .value_kind:     global_buffer
      - .offset:         48
        .size:           4
        .value_kind:     by_value
      - .offset:         52
        .size:           4
        .value_kind:     by_value
      - .offset:         56
        .size:           4
        .value_kind:     by_value
    .group_segment_fixed_size: 4096
    .kernarg_segment_align: 8
    .kernarg_segment_size: 60
    .language:       OpenCL C
    .language_version:
      - 2
      - 0
    .max_flat_workgroup_size: 128
    .name:           _ZN4vllm3moe17topkGatingSoftmaxILi8ELi256ELi4ELi16ELi32EiEEvPKfPKbPfiPT4_Piiii
    .private_segment_fixed_size: 0
    .sgpr_count:     18
    .sgpr_spill_count: 0
    .symbol:         _ZN4vllm3moe17topkGatingSoftmaxILi8ELi256ELi4ELi16ELi32EiEEvPKfPKbPfiPT4_Piiii.kd
    .uniform_work_group_size: 1
    .uses_dynamic_stack: false
    .vgpr_count:     42
    .vgpr_spill_count: 0
    .wavefront_size: 32
    .workgroup_processor_mode: 1
  - .args:
      - .address_space:  global
        .offset:         0
        .size:           8
        .value_kind:     global_buffer
      - .address_space:  global
        .offset:         8
        .size:           8
        .value_kind:     global_buffer
      - .address_space:  global
        .offset:         16
        .size:           8
        .value_kind:     global_buffer
      - .offset:         24
        .size:           4
        .value_kind:     by_value
      - .address_space:  global
        .offset:         32
        .size:           8
        .value_kind:     global_buffer
      - .address_space:  global
        .offset:         40
        .size:           8
        .value_kind:     global_buffer
      - .offset:         48
        .size:           4
        .value_kind:     by_value
      - .offset:         52
        .size:           4
        .value_kind:     by_value
      - .offset:         56
        .size:           4
        .value_kind:     by_value
    .group_segment_fixed_size: 8192
    .kernarg_segment_align: 8
    .kernarg_segment_size: 60
    .language:       OpenCL C
    .language_version:
      - 2
      - 0
    .max_flat_workgroup_size: 256
    .name:           _ZN4vllm3moe17topkGatingSoftmaxILi8ELi512ELi4ELi16ELi64EiEEvPKfPKbPfiPT4_Piiii
    .private_segment_fixed_size: 0
    .sgpr_count:     18
    .sgpr_spill_count: 0
    .symbol:         _ZN4vllm3moe17topkGatingSoftmaxILi8ELi512ELi4ELi16ELi64EiEEvPKfPKbPfiPT4_Piiii.kd
    .uniform_work_group_size: 1
    .uses_dynamic_stack: false
    .vgpr_count:     43
    .vgpr_spill_count: 0
    .wavefront_size: 32
    .workgroup_processor_mode: 1
  - .args:
      - .address_space:  global
        .offset:         0
        .size:           8
        .value_kind:     global_buffer
      - .address_space:  global
        .offset:         8
        .size:           8
        .value_kind:     global_buffer
      - .address_space:  global
        .offset:         16
        .size:           8
        .value_kind:     global_buffer
      - .offset:         24
        .size:           4
        .value_kind:     by_value
      - .address_space:  global
        .offset:         32
        .size:           8
        .value_kind:     global_buffer
      - .address_space:  global
        .offset:         40
        .size:           8
        .value_kind:     global_buffer
      - .offset:         48
        .size:           4
        .value_kind:     by_value
      - .offset:         52
        .size:           4
        .value_kind:     by_value
      - .offset:         56
        .size:           4
        .value_kind:     by_value
    .group_segment_fixed_size: 8192
    .kernarg_segment_align: 8
    .kernarg_segment_size: 60
    .language:       OpenCL C
    .language_version:
      - 2
      - 0
    .max_flat_workgroup_size: 128
    .name:           _ZN4vllm3moe17topkGatingSoftmaxILi16ELi512ELi4ELi16ELi32EiEEvPKfPKbPfiPT4_Piiii
    .private_segment_fixed_size: 0
    .sgpr_count:     18
    .sgpr_spill_count: 0
    .symbol:         _ZN4vllm3moe17topkGatingSoftmaxILi16ELi512ELi4ELi16ELi32EiEEvPKfPKbPfiPT4_Piiii.kd
    .uniform_work_group_size: 1
    .uses_dynamic_stack: false
    .vgpr_count:     74
    .vgpr_spill_count: 0
    .wavefront_size: 32
    .workgroup_processor_mode: 1
  - .args:
      - .address_space:  global
        .offset:         0
        .size:           8
        .value_kind:     global_buffer
      - .address_space:  global
        .offset:         8
        .size:           8
        .value_kind:     global_buffer
      - .address_space:  global
        .offset:         16
        .size:           8
        .value_kind:     global_buffer
      - .offset:         24
        .size:           4
        .value_kind:     by_value
    .group_segment_fixed_size: 40
    .kernarg_segment_align: 8
    .kernarg_segment_size: 28
    .language:       OpenCL C
    .language_version:
      - 2
      - 0
    .max_flat_workgroup_size: 256
    .name:           _ZN4vllm3moe10moeSoftmaxILi256EEEvPKfPKbPfi
    .private_segment_fixed_size: 0
    .sgpr_count:     18
    .sgpr_spill_count: 0
    .symbol:         _ZN4vllm3moe10moeSoftmaxILi256EEEvPKfPKbPfi.kd
    .uniform_work_group_size: 1
    .uses_dynamic_stack: false
    .vgpr_count:     15
    .vgpr_spill_count: 0
    .wavefront_size: 32
    .workgroup_processor_mode: 1
  - .args:
      - .address_space:  global
        .offset:         0
        .size:           8
        .value_kind:     global_buffer
      - .address_space:  global
        .offset:         8
        .size:           8
        .value_kind:     global_buffer
      - .address_space:  global
        .offset:         16
        .size:           8
        .value_kind:     global_buffer
      - .address_space:  global
        .offset:         24
        .size:           8
        .value_kind:     global_buffer
      - .address_space:  global
        .offset:         32
        .size:           8
        .value_kind:     global_buffer
      - .offset:         40
        .size:           4
        .value_kind:     by_value
      - .offset:         44
        .size:           4
        .value_kind:     by_value
      - .offset:         48
        .size:           4
        .value_kind:     by_value
      - .offset:         52
        .size:           4
        .value_kind:     by_value
      - .offset:         56
        .size:           4
        .value_kind:     hidden_block_count_x
      - .offset:         60
        .size:           4
        .value_kind:     hidden_block_count_y
      - .offset:         64
        .size:           4
        .value_kind:     hidden_block_count_z
      - .offset:         68
        .size:           2
        .value_kind:     hidden_group_size_x
      - .offset:         70
        .size:           2
        .value_kind:     hidden_group_size_y
      - .offset:         72
        .size:           2
        .value_kind:     hidden_group_size_z
      - .offset:         74
        .size:           2
        .value_kind:     hidden_remainder_x
      - .offset:         76
        .size:           2
        .value_kind:     hidden_remainder_y
      - .offset:         78
        .size:           2
        .value_kind:     hidden_remainder_z
      - .offset:         96
        .size:           8
        .value_kind:     hidden_global_offset_x
      - .offset:         104
        .size:           8
        .value_kind:     hidden_global_offset_y
      - .offset:         112
        .size:           8
        .value_kind:     hidden_global_offset_z
      - .offset:         120
        .size:           2
        .value_kind:     hidden_grid_dims
      - .offset:         136
        .size:           8
        .value_kind:     hidden_hostcall_buffer
    .group_segment_fixed_size: 64
    .kernarg_segment_align: 8
    .kernarg_segment_size: 312
    .language:       OpenCL C
    .language_version:
      - 2
      - 0
    .max_flat_workgroup_size: 256
    .name:           _ZN4vllm3moe7moeTopKILi256EiEEvPKfPKbPfPT0_Piiiii
    .private_segment_fixed_size: 64
    .sgpr_count:     42
    .sgpr_spill_count: 0
    .symbol:         _ZN4vllm3moe7moeTopKILi256EiEEvPKfPKbPfPT0_Piiiii.kd
    .uniform_work_group_size: 1
    .uses_dynamic_stack: false
    .vgpr_count:     41
    .vgpr_spill_count: 0
    .wavefront_size: 32
    .workgroup_processor_mode: 1
  - .args:
      - .address_space:  global
        .offset:         0
        .size:           8
        .value_kind:     global_buffer
      - .address_space:  global
        .offset:         8
        .size:           8
        .value_kind:     global_buffer
      - .address_space:  global
        .offset:         16
        .size:           8
        .value_kind:     global_buffer
      - .offset:         24
        .size:           4
        .value_kind:     by_value
      - .address_space:  global
        .offset:         32
        .size:           8
        .value_kind:     global_buffer
      - .address_space:  global
        .offset:         40
        .size:           8
        .value_kind:     global_buffer
      - .offset:         48
        .size:           4
        .value_kind:     by_value
      - .offset:         52
        .size:           4
        .value_kind:     by_value
      - .offset:         56
        .size:           4
        .value_kind:     by_value
    .group_segment_fixed_size: 0
    .kernarg_segment_align: 8
    .kernarg_segment_size: 60
    .language:       OpenCL C
    .language_version:
      - 2
      - 0
    .max_flat_workgroup_size: 256
    .name:           _ZN4vllm3moe17topkGatingSoftmaxILi1ELi1ELi4ELi4ELi64EjEEvPKfPKbPfiPT4_Piiii
    .private_segment_fixed_size: 0
    .sgpr_count:     18
    .sgpr_spill_count: 0
    .symbol:         _ZN4vllm3moe17topkGatingSoftmaxILi1ELi1ELi4ELi4ELi64EjEEvPKfPKbPfiPT4_Piiii.kd
    .uniform_work_group_size: 1
    .uses_dynamic_stack: false
    .vgpr_count:     10
    .vgpr_spill_count: 0
    .wavefront_size: 32
    .workgroup_processor_mode: 1
  - .args:
      - .address_space:  global
        .offset:         0
        .size:           8
        .value_kind:     global_buffer
      - .address_space:  global
        .offset:         8
        .size:           8
        .value_kind:     global_buffer
      - .address_space:  global
        .offset:         16
        .size:           8
        .value_kind:     global_buffer
      - .offset:         24
        .size:           4
        .value_kind:     by_value
      - .address_space:  global
        .offset:         32
        .size:           8
        .value_kind:     global_buffer
      - .address_space:  global
        .offset:         40
        .size:           8
        .value_kind:     global_buffer
      - .offset:         48
        .size:           4
        .value_kind:     by_value
      - .offset:         52
        .size:           4
        .value_kind:     by_value
      - .offset:         56
        .size:           4
        .value_kind:     by_value
    .group_segment_fixed_size: 0
    .kernarg_segment_align: 8
    .kernarg_segment_size: 60
    .language:       OpenCL C
    .language_version:
      - 2
      - 0
    .max_flat_workgroup_size: 128
    .name:           _ZN4vllm3moe17topkGatingSoftmaxILi1ELi1ELi4ELi4ELi32EjEEvPKfPKbPfiPT4_Piiii
    .private_segment_fixed_size: 0
    .sgpr_count:     18
    .sgpr_spill_count: 0
    .symbol:         _ZN4vllm3moe17topkGatingSoftmaxILi1ELi1ELi4ELi4ELi32EjEEvPKfPKbPfiPT4_Piiii.kd
    .uniform_work_group_size: 1
    .uses_dynamic_stack: false
    .vgpr_count:     10
    .vgpr_spill_count: 0
    .wavefront_size: 32
    .workgroup_processor_mode: 1
  - .args:
      - .address_space:  global
        .offset:         0
        .size:           8
        .value_kind:     global_buffer
      - .address_space:  global
        .offset:         8
        .size:           8
        .value_kind:     global_buffer
      - .address_space:  global
        .offset:         16
        .size:           8
        .value_kind:     global_buffer
      - .offset:         24
        .size:           4
        .value_kind:     by_value
      - .address_space:  global
        .offset:         32
        .size:           8
        .value_kind:     global_buffer
      - .address_space:  global
        .offset:         40
        .size:           8
        .value_kind:     global_buffer
      - .offset:         48
        .size:           4
        .value_kind:     by_value
      - .offset:         52
        .size:           4
        .value_kind:     by_value
      - .offset:         56
        .size:           4
        .value_kind:     by_value
    .group_segment_fixed_size: 0
    .kernarg_segment_align: 8
    .kernarg_segment_size: 60
    .language:       OpenCL C
    .language_version:
      - 2
      - 0
    .max_flat_workgroup_size: 256
    .name:           _ZN4vllm3moe17topkGatingSoftmaxILi2ELi2ELi4ELi8ELi64EjEEvPKfPKbPfiPT4_Piiii
    .private_segment_fixed_size: 0
    .sgpr_count:     18
    .sgpr_spill_count: 0
    .symbol:         _ZN4vllm3moe17topkGatingSoftmaxILi2ELi2ELi4ELi8ELi64EjEEvPKfPKbPfiPT4_Piiii.kd
    .uniform_work_group_size: 1
    .uses_dynamic_stack: false
    .vgpr_count:     12
    .vgpr_spill_count: 0
    .wavefront_size: 32
    .workgroup_processor_mode: 1
  - .args:
      - .address_space:  global
        .offset:         0
        .size:           8
        .value_kind:     global_buffer
      - .address_space:  global
        .offset:         8
        .size:           8
        .value_kind:     global_buffer
      - .address_space:  global
        .offset:         16
        .size:           8
        .value_kind:     global_buffer
      - .offset:         24
        .size:           4
        .value_kind:     by_value
      - .address_space:  global
        .offset:         32
        .size:           8
        .value_kind:     global_buffer
      - .address_space:  global
        .offset:         40
        .size:           8
        .value_kind:     global_buffer
      - .offset:         48
        .size:           4
        .value_kind:     by_value
      - .offset:         52
        .size:           4
        .value_kind:     by_value
      - .offset:         56
        .size:           4
        .value_kind:     by_value
    .group_segment_fixed_size: 0
    .kernarg_segment_align: 8
    .kernarg_segment_size: 60
    .language:       OpenCL C
    .language_version:
      - 2
      - 0
    .max_flat_workgroup_size: 128
    .name:           _ZN4vllm3moe17topkGatingSoftmaxILi2ELi2ELi4ELi8ELi32EjEEvPKfPKbPfiPT4_Piiii
    .private_segment_fixed_size: 0
    .sgpr_count:     18
    .sgpr_spill_count: 0
    .symbol:         _ZN4vllm3moe17topkGatingSoftmaxILi2ELi2ELi4ELi8ELi32EjEEvPKfPKbPfiPT4_Piiii.kd
    .uniform_work_group_size: 1
    .uses_dynamic_stack: false
    .vgpr_count:     12
    .vgpr_spill_count: 0
    .wavefront_size: 32
    .workgroup_processor_mode: 1
  - .args:
      - .address_space:  global
        .offset:         0
        .size:           8
        .value_kind:     global_buffer
      - .address_space:  global
        .offset:         8
        .size:           8
        .value_kind:     global_buffer
      - .address_space:  global
        .offset:         16
        .size:           8
        .value_kind:     global_buffer
      - .offset:         24
        .size:           4
        .value_kind:     by_value
      - .address_space:  global
        .offset:         32
        .size:           8
        .value_kind:     global_buffer
      - .address_space:  global
        .offset:         40
        .size:           8
        .value_kind:     global_buffer
      - .offset:         48
        .size:           4
        .value_kind:     by_value
      - .offset:         52
        .size:           4
        .value_kind:     by_value
      - .offset:         56
        .size:           4
        .value_kind:     by_value
    .group_segment_fixed_size: 4096
    .kernarg_segment_align: 8
    .kernarg_segment_size: 60
    .language:       OpenCL C
    .language_version:
      - 2
      - 0
    .max_flat_workgroup_size: 256
    .name:           _ZN4vllm3moe17topkGatingSoftmaxILi4ELi4ELi4ELi16ELi64EjEEvPKfPKbPfiPT4_Piiii
    .private_segment_fixed_size: 0
    .sgpr_count:     18
    .sgpr_spill_count: 0
    .symbol:         _ZN4vllm3moe17topkGatingSoftmaxILi4ELi4ELi4ELi16ELi64EjEEvPKfPKbPfiPT4_Piiii.kd
    .uniform_work_group_size: 1
    .uses_dynamic_stack: false
    .vgpr_count:     20
    .vgpr_spill_count: 0
    .wavefront_size: 32
    .workgroup_processor_mode: 1
  - .args:
      - .address_space:  global
        .offset:         0
        .size:           8
        .value_kind:     global_buffer
      - .address_space:  global
        .offset:         8
        .size:           8
        .value_kind:     global_buffer
      - .address_space:  global
        .offset:         16
        .size:           8
        .value_kind:     global_buffer
      - .offset:         24
        .size:           4
        .value_kind:     by_value
      - .address_space:  global
        .offset:         32
        .size:           8
        .value_kind:     global_buffer
      - .address_space:  global
        .offset:         40
        .size:           8
        .value_kind:     global_buffer
      - .offset:         48
        .size:           4
        .value_kind:     by_value
      - .offset:         52
        .size:           4
        .value_kind:     by_value
      - .offset:         56
        .size:           4
        .value_kind:     by_value
    .group_segment_fixed_size: 2048
    .kernarg_segment_align: 8
    .kernarg_segment_size: 60
    .language:       OpenCL C
    .language_version:
      - 2
      - 0
    .max_flat_workgroup_size: 128
    .name:           _ZN4vllm3moe17topkGatingSoftmaxILi4ELi4ELi4ELi16ELi32EjEEvPKfPKbPfiPT4_Piiii
    .private_segment_fixed_size: 0
    .sgpr_count:     18
    .sgpr_spill_count: 0
    .symbol:         _ZN4vllm3moe17topkGatingSoftmaxILi4ELi4ELi4ELi16ELi32EjEEvPKfPKbPfiPT4_Piiii.kd
    .uniform_work_group_size: 1
    .uses_dynamic_stack: false
    .vgpr_count:     20
    .vgpr_spill_count: 0
    .wavefront_size: 32
    .workgroup_processor_mode: 1
  - .args:
      - .address_space:  global
        .offset:         0
        .size:           8
        .value_kind:     global_buffer
      - .address_space:  global
        .offset:         8
        .size:           8
        .value_kind:     global_buffer
      - .address_space:  global
        .offset:         16
        .size:           8
        .value_kind:     global_buffer
      - .offset:         24
        .size:           4
        .value_kind:     by_value
      - .address_space:  global
        .offset:         32
        .size:           8
        .value_kind:     global_buffer
      - .address_space:  global
        .offset:         40
        .size:           8
        .value_kind:     global_buffer
      - .offset:         48
        .size:           4
        .value_kind:     by_value
      - .offset:         52
        .size:           4
        .value_kind:     by_value
      - .offset:         56
        .size:           4
        .value_kind:     by_value
    .group_segment_fixed_size: 4096
    .kernarg_segment_align: 8
    .kernarg_segment_size: 60
    .language:       OpenCL C
    .language_version:
      - 2
      - 0
    .max_flat_workgroup_size: 256
    .name:           _ZN4vllm3moe17topkGatingSoftmaxILi4ELi8ELi4ELi16ELi64EjEEvPKfPKbPfiPT4_Piiii
    .private_segment_fixed_size: 0
    .sgpr_count:     18
    .sgpr_spill_count: 0
    .symbol:         _ZN4vllm3moe17topkGatingSoftmaxILi4ELi8ELi4ELi16ELi64EjEEvPKfPKbPfiPT4_Piiii.kd
    .uniform_work_group_size: 1
    .uses_dynamic_stack: false
    .vgpr_count:     22
    .vgpr_spill_count: 0
    .wavefront_size: 32
    .workgroup_processor_mode: 1
  - .args:
      - .address_space:  global
        .offset:         0
        .size:           8
        .value_kind:     global_buffer
      - .address_space:  global
        .offset:         8
        .size:           8
        .value_kind:     global_buffer
      - .address_space:  global
        .offset:         16
        .size:           8
        .value_kind:     global_buffer
      - .offset:         24
        .size:           4
        .value_kind:     by_value
      - .address_space:  global
        .offset:         32
        .size:           8
        .value_kind:     global_buffer
      - .address_space:  global
        .offset:         40
        .size:           8
        .value_kind:     global_buffer
      - .offset:         48
        .size:           4
        .value_kind:     by_value
      - .offset:         52
        .size:           4
        .value_kind:     by_value
      - .offset:         56
        .size:           4
        .value_kind:     by_value
    .group_segment_fixed_size: 2048
    .kernarg_segment_align: 8
    .kernarg_segment_size: 60
    .language:       OpenCL C
    .language_version:
      - 2
      - 0
    .max_flat_workgroup_size: 128
    .name:           _ZN4vllm3moe17topkGatingSoftmaxILi4ELi8ELi4ELi16ELi32EjEEvPKfPKbPfiPT4_Piiii
    .private_segment_fixed_size: 0
    .sgpr_count:     18
    .sgpr_spill_count: 0
    .symbol:         _ZN4vllm3moe17topkGatingSoftmaxILi4ELi8ELi4ELi16ELi32EjEEvPKfPKbPfiPT4_Piiii.kd
    .uniform_work_group_size: 1
    .uses_dynamic_stack: false
    .vgpr_count:     22
    .vgpr_spill_count: 0
    .wavefront_size: 32
    .workgroup_processor_mode: 1
  - .args:
      - .address_space:  global
        .offset:         0
        .size:           8
        .value_kind:     global_buffer
      - .address_space:  global
        .offset:         8
        .size:           8
        .value_kind:     global_buffer
      - .address_space:  global
        .offset:         16
        .size:           8
        .value_kind:     global_buffer
      - .offset:         24
        .size:           4
        .value_kind:     by_value
      - .address_space:  global
        .offset:         32
        .size:           8
        .value_kind:     global_buffer
      - .address_space:  global
        .offset:         40
        .size:           8
        .value_kind:     global_buffer
      - .offset:         48
        .size:           4
        .value_kind:     by_value
      - .offset:         52
        .size:           4
        .value_kind:     by_value
      - .offset:         56
        .size:           4
        .value_kind:     by_value
    .group_segment_fixed_size: 4096
    .kernarg_segment_align: 8
    .kernarg_segment_size: 60
    .language:       OpenCL C
    .language_version:
      - 2
      - 0
    .max_flat_workgroup_size: 256
    .name:           _ZN4vllm3moe17topkGatingSoftmaxILi4ELi16ELi4ELi16ELi64EjEEvPKfPKbPfiPT4_Piiii
    .private_segment_fixed_size: 0
    .sgpr_count:     18
    .sgpr_spill_count: 0
    .symbol:         _ZN4vllm3moe17topkGatingSoftmaxILi4ELi16ELi4ELi16ELi64EjEEvPKfPKbPfiPT4_Piiii.kd
    .uniform_work_group_size: 1
    .uses_dynamic_stack: false
    .vgpr_count:     23
    .vgpr_spill_count: 0
    .wavefront_size: 32
    .workgroup_processor_mode: 1
  - .args:
      - .address_space:  global
        .offset:         0
        .size:           8
        .value_kind:     global_buffer
      - .address_space:  global
        .offset:         8
        .size:           8
        .value_kind:     global_buffer
      - .address_space:  global
        .offset:         16
        .size:           8
        .value_kind:     global_buffer
      - .offset:         24
        .size:           4
        .value_kind:     by_value
      - .address_space:  global
        .offset:         32
        .size:           8
        .value_kind:     global_buffer
      - .address_space:  global
        .offset:         40
        .size:           8
        .value_kind:     global_buffer
      - .offset:         48
        .size:           4
        .value_kind:     by_value
      - .offset:         52
        .size:           4
        .value_kind:     by_value
      - .offset:         56
        .size:           4
        .value_kind:     by_value
    .group_segment_fixed_size: 2048
    .kernarg_segment_align: 8
    .kernarg_segment_size: 60
    .language:       OpenCL C
    .language_version:
      - 2
      - 0
    .max_flat_workgroup_size: 128
    .name:           _ZN4vllm3moe17topkGatingSoftmaxILi4ELi16ELi4ELi16ELi32EjEEvPKfPKbPfiPT4_Piiii
    .private_segment_fixed_size: 0
    .sgpr_count:     18
    .sgpr_spill_count: 0
    .symbol:         _ZN4vllm3moe17topkGatingSoftmaxILi4ELi16ELi4ELi16ELi32EjEEvPKfPKbPfiPT4_Piiii.kd
    .uniform_work_group_size: 1
    .uses_dynamic_stack: false
    .vgpr_count:     23
    .vgpr_spill_count: 0
    .wavefront_size: 32
    .workgroup_processor_mode: 1
  - .args:
      - .address_space:  global
        .offset:         0
        .size:           8
        .value_kind:     global_buffer
      - .address_space:  global
        .offset:         8
        .size:           8
        .value_kind:     global_buffer
      - .address_space:  global
        .offset:         16
        .size:           8
        .value_kind:     global_buffer
      - .offset:         24
        .size:           4
        .value_kind:     by_value
      - .address_space:  global
        .offset:         32
        .size:           8
        .value_kind:     global_buffer
      - .address_space:  global
        .offset:         40
        .size:           8
        .value_kind:     global_buffer
      - .offset:         48
        .size:           4
        .value_kind:     by_value
      - .offset:         52
        .size:           4
        .value_kind:     by_value
      - .offset:         56
        .size:           4
        .value_kind:     by_value
    .group_segment_fixed_size: 4096
    .kernarg_segment_align: 8
    .kernarg_segment_size: 60
    .language:       OpenCL C
    .language_version:
      - 2
      - 0
    .max_flat_workgroup_size: 256
    .name:           _ZN4vllm3moe17topkGatingSoftmaxILi4ELi32ELi4ELi16ELi64EjEEvPKfPKbPfiPT4_Piiii
    .private_segment_fixed_size: 0
    .sgpr_count:     18
    .sgpr_spill_count: 0
    .symbol:         _ZN4vllm3moe17topkGatingSoftmaxILi4ELi32ELi4ELi16ELi64EjEEvPKfPKbPfiPT4_Piiii.kd
    .uniform_work_group_size: 1
    .uses_dynamic_stack: false
    .vgpr_count:     24
    .vgpr_spill_count: 0
    .wavefront_size: 32
    .workgroup_processor_mode: 1
  - .args:
      - .address_space:  global
        .offset:         0
        .size:           8
        .value_kind:     global_buffer
      - .address_space:  global
        .offset:         8
        .size:           8
        .value_kind:     global_buffer
      - .address_space:  global
        .offset:         16
        .size:           8
        .value_kind:     global_buffer
      - .offset:         24
        .size:           4
        .value_kind:     by_value
      - .address_space:  global
        .offset:         32
        .size:           8
        .value_kind:     global_buffer
      - .address_space:  global
        .offset:         40
        .size:           8
        .value_kind:     global_buffer
      - .offset:         48
        .size:           4
        .value_kind:     by_value
      - .offset:         52
        .size:           4
        .value_kind:     by_value
      - .offset:         56
        .size:           4
        .value_kind:     by_value
    .group_segment_fixed_size: 2048
    .kernarg_segment_align: 8
    .kernarg_segment_size: 60
    .language:       OpenCL C
    .language_version:
      - 2
      - 0
    .max_flat_workgroup_size: 128
    .name:           _ZN4vllm3moe17topkGatingSoftmaxILi4ELi32ELi4ELi16ELi32EjEEvPKfPKbPfiPT4_Piiii
    .private_segment_fixed_size: 0
    .sgpr_count:     18
    .sgpr_spill_count: 0
    .symbol:         _ZN4vllm3moe17topkGatingSoftmaxILi4ELi32ELi4ELi16ELi32EjEEvPKfPKbPfiPT4_Piiii.kd
    .uniform_work_group_size: 1
    .uses_dynamic_stack: false
    .vgpr_count:     24
    .vgpr_spill_count: 0
    .wavefront_size: 32
    .workgroup_processor_mode: 1
  - .args:
      - .address_space:  global
        .offset:         0
        .size:           8
        .value_kind:     global_buffer
      - .address_space:  global
        .offset:         8
        .size:           8
        .value_kind:     global_buffer
      - .address_space:  global
        .offset:         16
        .size:           8
        .value_kind:     global_buffer
      - .offset:         24
        .size:           4
        .value_kind:     by_value
      - .address_space:  global
        .offset:         32
        .size:           8
        .value_kind:     global_buffer
      - .address_space:  global
        .offset:         40
        .size:           8
        .value_kind:     global_buffer
      - .offset:         48
        .size:           4
        .value_kind:     by_value
      - .offset:         52
        .size:           4
        .value_kind:     by_value
      - .offset:         56
        .size:           4
        .value_kind:     by_value
    .group_segment_fixed_size: 4096
    .kernarg_segment_align: 8
    .kernarg_segment_size: 60
    .language:       OpenCL C
    .language_version:
      - 2
      - 0
    .max_flat_workgroup_size: 256
    .name:           _ZN4vllm3moe17topkGatingSoftmaxILi4ELi64ELi4ELi16ELi64EjEEvPKfPKbPfiPT4_Piiii
    .private_segment_fixed_size: 0
    .sgpr_count:     18
    .sgpr_spill_count: 0
    .symbol:         _ZN4vllm3moe17topkGatingSoftmaxILi4ELi64ELi4ELi16ELi64EjEEvPKfPKbPfiPT4_Piiii.kd
    .uniform_work_group_size: 1
    .uses_dynamic_stack: false
    .vgpr_count:     25
    .vgpr_spill_count: 0
    .wavefront_size: 32
    .workgroup_processor_mode: 1
  - .args:
      - .address_space:  global
        .offset:         0
        .size:           8
        .value_kind:     global_buffer
      - .address_space:  global
        .offset:         8
        .size:           8
        .value_kind:     global_buffer
      - .address_space:  global
        .offset:         16
        .size:           8
        .value_kind:     global_buffer
      - .offset:         24
        .size:           4
        .value_kind:     by_value
      - .address_space:  global
        .offset:         32
        .size:           8
        .value_kind:     global_buffer
      - .address_space:  global
        .offset:         40
        .size:           8
        .value_kind:     global_buffer
      - .offset:         48
        .size:           4
        .value_kind:     by_value
      - .offset:         52
        .size:           4
        .value_kind:     by_value
      - .offset:         56
        .size:           4
        .value_kind:     by_value
    .group_segment_fixed_size: 2048
    .kernarg_segment_align: 8
    .kernarg_segment_size: 60
    .language:       OpenCL C
    .language_version:
      - 2
      - 0
    .max_flat_workgroup_size: 128
    .name:           _ZN4vllm3moe17topkGatingSoftmaxILi4ELi64ELi4ELi16ELi32EjEEvPKfPKbPfiPT4_Piiii
    .private_segment_fixed_size: 0
    .sgpr_count:     18
    .sgpr_spill_count: 0
    .symbol:         _ZN4vllm3moe17topkGatingSoftmaxILi4ELi64ELi4ELi16ELi32EjEEvPKfPKbPfiPT4_Piiii.kd
    .uniform_work_group_size: 1
    .uses_dynamic_stack: false
    .vgpr_count:     25
    .vgpr_spill_count: 0
    .wavefront_size: 32
    .workgroup_processor_mode: 1
  - .args:
      - .address_space:  global
        .offset:         0
        .size:           8
        .value_kind:     global_buffer
      - .address_space:  global
        .offset:         8
        .size:           8
        .value_kind:     global_buffer
      - .address_space:  global
        .offset:         16
        .size:           8
        .value_kind:     global_buffer
      - .offset:         24
        .size:           4
        .value_kind:     by_value
      - .address_space:  global
        .offset:         32
        .size:           8
        .value_kind:     global_buffer
      - .address_space:  global
        .offset:         40
        .size:           8
        .value_kind:     global_buffer
      - .offset:         48
        .size:           4
        .value_kind:     by_value
      - .offset:         52
        .size:           4
        .value_kind:     by_value
      - .offset:         56
        .size:           4
        .value_kind:     by_value
    .group_segment_fixed_size: 4096
    .kernarg_segment_align: 8
    .kernarg_segment_size: 60
    .language:       OpenCL C
    .language_version:
      - 2
      - 0
    .max_flat_workgroup_size: 256
    .name:           _ZN4vllm3moe17topkGatingSoftmaxILi4ELi128ELi4ELi16ELi64EjEEvPKfPKbPfiPT4_Piiii
    .private_segment_fixed_size: 0
    .sgpr_count:     18
    .sgpr_spill_count: 0
    .symbol:         _ZN4vllm3moe17topkGatingSoftmaxILi4ELi128ELi4ELi16ELi64EjEEvPKfPKbPfiPT4_Piiii.kd
    .uniform_work_group_size: 1
    .uses_dynamic_stack: false
    .vgpr_count:     26
    .vgpr_spill_count: 0
    .wavefront_size: 32
    .workgroup_processor_mode: 1
  - .args:
      - .address_space:  global
        .offset:         0
        .size:           8
        .value_kind:     global_buffer
      - .address_space:  global
        .offset:         8
        .size:           8
        .value_kind:     global_buffer
      - .address_space:  global
        .offset:         16
        .size:           8
        .value_kind:     global_buffer
      - .offset:         24
        .size:           4
        .value_kind:     by_value
      - .address_space:  global
        .offset:         32
        .size:           8
        .value_kind:     global_buffer
      - .address_space:  global
        .offset:         40
        .size:           8
        .value_kind:     global_buffer
      - .offset:         48
        .size:           4
        .value_kind:     by_value
      - .offset:         52
        .size:           4
        .value_kind:     by_value
      - .offset:         56
        .size:           4
        .value_kind:     by_value
    .group_segment_fixed_size: 2048
    .kernarg_segment_align: 8
    .kernarg_segment_size: 60
    .language:       OpenCL C
    .language_version:
      - 2
      - 0
    .max_flat_workgroup_size: 128
    .name:           _ZN4vllm3moe17topkGatingSoftmaxILi4ELi128ELi4ELi16ELi32EjEEvPKfPKbPfiPT4_Piiii
    .private_segment_fixed_size: 0
    .sgpr_count:     18
    .sgpr_spill_count: 0
    .symbol:         _ZN4vllm3moe17topkGatingSoftmaxILi4ELi128ELi4ELi16ELi32EjEEvPKfPKbPfiPT4_Piiii.kd
    .uniform_work_group_size: 1
    .uses_dynamic_stack: false
    .vgpr_count:     26
    .vgpr_spill_count: 0
    .wavefront_size: 32
    .workgroup_processor_mode: 1
  - .args:
      - .address_space:  global
        .offset:         0
        .size:           8
        .value_kind:     global_buffer
      - .address_space:  global
        .offset:         8
        .size:           8
        .value_kind:     global_buffer
      - .address_space:  global
        .offset:         16
        .size:           8
        .value_kind:     global_buffer
      - .offset:         24
        .size:           4
        .value_kind:     by_value
      - .address_space:  global
        .offset:         32
        .size:           8
        .value_kind:     global_buffer
      - .address_space:  global
        .offset:         40
        .size:           8
        .value_kind:     global_buffer
      - .offset:         48
        .size:           4
        .value_kind:     by_value
      - .offset:         52
        .size:           4
        .value_kind:     by_value
      - .offset:         56
        .size:           4
        .value_kind:     by_value
    .group_segment_fixed_size: 4096
    .kernarg_segment_align: 8
    .kernarg_segment_size: 60
    .language:       OpenCL C
    .language_version:
      - 2
      - 0
    .max_flat_workgroup_size: 256
    .name:           _ZN4vllm3moe17topkGatingSoftmaxILi4ELi256ELi4ELi16ELi64EjEEvPKfPKbPfiPT4_Piiii
    .private_segment_fixed_size: 0
    .sgpr_count:     18
    .sgpr_spill_count: 0
    .symbol:         _ZN4vllm3moe17topkGatingSoftmaxILi4ELi256ELi4ELi16ELi64EjEEvPKfPKbPfiPT4_Piiii.kd
    .uniform_work_group_size: 1
    .uses_dynamic_stack: false
    .vgpr_count:     27
    .vgpr_spill_count: 0
    .wavefront_size: 32
    .workgroup_processor_mode: 1
  - .args:
      - .address_space:  global
        .offset:         0
        .size:           8
        .value_kind:     global_buffer
      - .address_space:  global
        .offset:         8
        .size:           8
        .value_kind:     global_buffer
      - .address_space:  global
        .offset:         16
        .size:           8
        .value_kind:     global_buffer
      - .offset:         24
        .size:           4
        .value_kind:     by_value
      - .address_space:  global
        .offset:         32
        .size:           8
        .value_kind:     global_buffer
      - .address_space:  global
        .offset:         40
        .size:           8
        .value_kind:     global_buffer
      - .offset:         48
        .size:           4
        .value_kind:     by_value
      - .offset:         52
        .size:           4
        .value_kind:     by_value
      - .offset:         56
        .size:           4
        .value_kind:     by_value
    .group_segment_fixed_size: 4096
    .kernarg_segment_align: 8
    .kernarg_segment_size: 60
    .language:       OpenCL C
    .language_version:
      - 2
      - 0
    .max_flat_workgroup_size: 128
    .name:           _ZN4vllm3moe17topkGatingSoftmaxILi8ELi256ELi4ELi16ELi32EjEEvPKfPKbPfiPT4_Piiii
    .private_segment_fixed_size: 0
    .sgpr_count:     18
    .sgpr_spill_count: 0
    .symbol:         _ZN4vllm3moe17topkGatingSoftmaxILi8ELi256ELi4ELi16ELi32EjEEvPKfPKbPfiPT4_Piiii.kd
    .uniform_work_group_size: 1
    .uses_dynamic_stack: false
    .vgpr_count:     42
    .vgpr_spill_count: 0
    .wavefront_size: 32
    .workgroup_processor_mode: 1
  - .args:
      - .address_space:  global
        .offset:         0
        .size:           8
        .value_kind:     global_buffer
      - .address_space:  global
        .offset:         8
        .size:           8
        .value_kind:     global_buffer
      - .address_space:  global
        .offset:         16
        .size:           8
        .value_kind:     global_buffer
      - .offset:         24
        .size:           4
        .value_kind:     by_value
      - .address_space:  global
        .offset:         32
        .size:           8
        .value_kind:     global_buffer
      - .address_space:  global
        .offset:         40
        .size:           8
        .value_kind:     global_buffer
      - .offset:         48
        .size:           4
        .value_kind:     by_value
      - .offset:         52
        .size:           4
        .value_kind:     by_value
      - .offset:         56
        .size:           4
        .value_kind:     by_value
    .group_segment_fixed_size: 8192
    .kernarg_segment_align: 8
    .kernarg_segment_size: 60
    .language:       OpenCL C
    .language_version:
      - 2
      - 0
    .max_flat_workgroup_size: 256
    .name:           _ZN4vllm3moe17topkGatingSoftmaxILi8ELi512ELi4ELi16ELi64EjEEvPKfPKbPfiPT4_Piiii
    .private_segment_fixed_size: 0
    .sgpr_count:     18
    .sgpr_spill_count: 0
    .symbol:         _ZN4vllm3moe17topkGatingSoftmaxILi8ELi512ELi4ELi16ELi64EjEEvPKfPKbPfiPT4_Piiii.kd
    .uniform_work_group_size: 1
    .uses_dynamic_stack: false
    .vgpr_count:     43
    .vgpr_spill_count: 0
    .wavefront_size: 32
    .workgroup_processor_mode: 1
  - .args:
      - .address_space:  global
        .offset:         0
        .size:           8
        .value_kind:     global_buffer
      - .address_space:  global
        .offset:         8
        .size:           8
        .value_kind:     global_buffer
      - .address_space:  global
        .offset:         16
        .size:           8
        .value_kind:     global_buffer
      - .offset:         24
        .size:           4
        .value_kind:     by_value
      - .address_space:  global
        .offset:         32
        .size:           8
        .value_kind:     global_buffer
      - .address_space:  global
        .offset:         40
        .size:           8
        .value_kind:     global_buffer
      - .offset:         48
        .size:           4
        .value_kind:     by_value
      - .offset:         52
        .size:           4
        .value_kind:     by_value
      - .offset:         56
        .size:           4
        .value_kind:     by_value
    .group_segment_fixed_size: 8192
    .kernarg_segment_align: 8
    .kernarg_segment_size: 60
    .language:       OpenCL C
    .language_version:
      - 2
      - 0
    .max_flat_workgroup_size: 128
    .name:           _ZN4vllm3moe17topkGatingSoftmaxILi16ELi512ELi4ELi16ELi32EjEEvPKfPKbPfiPT4_Piiii
    .private_segment_fixed_size: 0
    .sgpr_count:     18
    .sgpr_spill_count: 0
    .symbol:         _ZN4vllm3moe17topkGatingSoftmaxILi16ELi512ELi4ELi16ELi32EjEEvPKfPKbPfiPT4_Piiii.kd
    .uniform_work_group_size: 1
    .uses_dynamic_stack: false
    .vgpr_count:     74
    .vgpr_spill_count: 0
    .wavefront_size: 32
    .workgroup_processor_mode: 1
  - .args:
      - .address_space:  global
        .offset:         0
        .size:           8
        .value_kind:     global_buffer
      - .address_space:  global
        .offset:         8
        .size:           8
        .value_kind:     global_buffer
      - .address_space:  global
        .offset:         16
        .size:           8
        .value_kind:     global_buffer
      - .address_space:  global
        .offset:         24
        .size:           8
        .value_kind:     global_buffer
      - .address_space:  global
        .offset:         32
        .size:           8
        .value_kind:     global_buffer
      - .offset:         40
        .size:           4
        .value_kind:     by_value
      - .offset:         44
        .size:           4
        .value_kind:     by_value
      - .offset:         48
        .size:           4
        .value_kind:     by_value
      - .offset:         52
        .size:           4
        .value_kind:     by_value
      - .offset:         56
        .size:           4
        .value_kind:     hidden_block_count_x
      - .offset:         60
        .size:           4
        .value_kind:     hidden_block_count_y
      - .offset:         64
        .size:           4
        .value_kind:     hidden_block_count_z
      - .offset:         68
        .size:           2
        .value_kind:     hidden_group_size_x
      - .offset:         70
        .size:           2
        .value_kind:     hidden_group_size_y
      - .offset:         72
        .size:           2
        .value_kind:     hidden_group_size_z
      - .offset:         74
        .size:           2
        .value_kind:     hidden_remainder_x
      - .offset:         76
        .size:           2
        .value_kind:     hidden_remainder_y
      - .offset:         78
        .size:           2
        .value_kind:     hidden_remainder_z
      - .offset:         96
        .size:           8
        .value_kind:     hidden_global_offset_x
      - .offset:         104
        .size:           8
        .value_kind:     hidden_global_offset_y
      - .offset:         112
        .size:           8
        .value_kind:     hidden_global_offset_z
      - .offset:         120
        .size:           2
        .value_kind:     hidden_grid_dims
    .group_segment_fixed_size: 64
    .kernarg_segment_align: 8
    .kernarg_segment_size: 312
    .language:       OpenCL C
    .language_version:
      - 2
      - 0
    .max_flat_workgroup_size: 256
    .name:           _ZN4vllm3moe7moeTopKILi256EjEEvPKfPKbPfPT0_Piiiii
    .private_segment_fixed_size: 0
    .sgpr_count:     34
    .sgpr_spill_count: 0
    .symbol:         _ZN4vllm3moe7moeTopKILi256EjEEvPKfPKbPfPT0_Piiiii.kd
    .uniform_work_group_size: 1
    .uses_dynamic_stack: false
    .vgpr_count:     14
    .vgpr_spill_count: 0
    .wavefront_size: 32
    .workgroup_processor_mode: 1
  - .args:
      - .address_space:  global
        .offset:         0
        .size:           8
        .value_kind:     global_buffer
      - .address_space:  global
        .offset:         8
        .size:           8
        .value_kind:     global_buffer
      - .address_space:  global
        .offset:         16
        .size:           8
        .value_kind:     global_buffer
      - .offset:         24
        .size:           4
        .value_kind:     by_value
      - .address_space:  global
        .offset:         32
        .size:           8
        .value_kind:     global_buffer
      - .address_space:  global
        .offset:         40
        .size:           8
        .value_kind:     global_buffer
      - .offset:         48
        .size:           4
        .value_kind:     by_value
      - .offset:         52
        .size:           4
        .value_kind:     by_value
      - .offset:         56
        .size:           4
        .value_kind:     by_value
    .group_segment_fixed_size: 0
    .kernarg_segment_align: 8
    .kernarg_segment_size: 60
    .language:       OpenCL C
    .language_version:
      - 2
      - 0
    .max_flat_workgroup_size: 256
    .name:           _ZN4vllm3moe17topkGatingSoftmaxILi1ELi1ELi4ELi4ELi64ElEEvPKfPKbPfiPT4_Piiii
    .private_segment_fixed_size: 0
    .sgpr_count:     18
    .sgpr_spill_count: 0
    .symbol:         _ZN4vllm3moe17topkGatingSoftmaxILi1ELi1ELi4ELi4ELi64ElEEvPKfPKbPfiPT4_Piiii.kd
    .uniform_work_group_size: 1
    .uses_dynamic_stack: false
    .vgpr_count:     13
    .vgpr_spill_count: 0
    .wavefront_size: 32
    .workgroup_processor_mode: 1
  - .args:
      - .address_space:  global
        .offset:         0
        .size:           8
        .value_kind:     global_buffer
      - .address_space:  global
        .offset:         8
        .size:           8
        .value_kind:     global_buffer
      - .address_space:  global
        .offset:         16
        .size:           8
        .value_kind:     global_buffer
      - .offset:         24
        .size:           4
        .value_kind:     by_value
      - .address_space:  global
        .offset:         32
        .size:           8
        .value_kind:     global_buffer
      - .address_space:  global
        .offset:         40
        .size:           8
        .value_kind:     global_buffer
      - .offset:         48
        .size:           4
        .value_kind:     by_value
      - .offset:         52
        .size:           4
        .value_kind:     by_value
      - .offset:         56
        .size:           4
        .value_kind:     by_value
    .group_segment_fixed_size: 0
    .kernarg_segment_align: 8
    .kernarg_segment_size: 60
    .language:       OpenCL C
    .language_version:
      - 2
      - 0
    .max_flat_workgroup_size: 128
    .name:           _ZN4vllm3moe17topkGatingSoftmaxILi1ELi1ELi4ELi4ELi32ElEEvPKfPKbPfiPT4_Piiii
    .private_segment_fixed_size: 0
    .sgpr_count:     18
    .sgpr_spill_count: 0
    .symbol:         _ZN4vllm3moe17topkGatingSoftmaxILi1ELi1ELi4ELi4ELi32ElEEvPKfPKbPfiPT4_Piiii.kd
    .uniform_work_group_size: 1
    .uses_dynamic_stack: false
    .vgpr_count:     13
    .vgpr_spill_count: 0
    .wavefront_size: 32
    .workgroup_processor_mode: 1
  - .args:
      - .address_space:  global
        .offset:         0
        .size:           8
        .value_kind:     global_buffer
      - .address_space:  global
        .offset:         8
        .size:           8
        .value_kind:     global_buffer
      - .address_space:  global
        .offset:         16
        .size:           8
        .value_kind:     global_buffer
      - .offset:         24
        .size:           4
        .value_kind:     by_value
      - .address_space:  global
        .offset:         32
        .size:           8
        .value_kind:     global_buffer
      - .address_space:  global
        .offset:         40
        .size:           8
        .value_kind:     global_buffer
      - .offset:         48
        .size:           4
        .value_kind:     by_value
      - .offset:         52
        .size:           4
        .value_kind:     by_value
      - .offset:         56
        .size:           4
        .value_kind:     by_value
    .group_segment_fixed_size: 0
    .kernarg_segment_align: 8
    .kernarg_segment_size: 60
    .language:       OpenCL C
    .language_version:
      - 2
      - 0
    .max_flat_workgroup_size: 256
    .name:           _ZN4vllm3moe17topkGatingSoftmaxILi2ELi2ELi4ELi8ELi64ElEEvPKfPKbPfiPT4_Piiii
    .private_segment_fixed_size: 0
    .sgpr_count:     18
    .sgpr_spill_count: 0
    .symbol:         _ZN4vllm3moe17topkGatingSoftmaxILi2ELi2ELi4ELi8ELi64ElEEvPKfPKbPfiPT4_Piiii.kd
    .uniform_work_group_size: 1
    .uses_dynamic_stack: false
    .vgpr_count:     13
    .vgpr_spill_count: 0
    .wavefront_size: 32
    .workgroup_processor_mode: 1
  - .args:
      - .address_space:  global
        .offset:         0
        .size:           8
        .value_kind:     global_buffer
      - .address_space:  global
        .offset:         8
        .size:           8
        .value_kind:     global_buffer
      - .address_space:  global
        .offset:         16
        .size:           8
        .value_kind:     global_buffer
      - .offset:         24
        .size:           4
        .value_kind:     by_value
      - .address_space:  global
        .offset:         32
        .size:           8
        .value_kind:     global_buffer
      - .address_space:  global
        .offset:         40
        .size:           8
        .value_kind:     global_buffer
      - .offset:         48
        .size:           4
        .value_kind:     by_value
      - .offset:         52
        .size:           4
        .value_kind:     by_value
      - .offset:         56
        .size:           4
        .value_kind:     by_value
    .group_segment_fixed_size: 0
    .kernarg_segment_align: 8
    .kernarg_segment_size: 60
    .language:       OpenCL C
    .language_version:
      - 2
      - 0
    .max_flat_workgroup_size: 128
    .name:           _ZN4vllm3moe17topkGatingSoftmaxILi2ELi2ELi4ELi8ELi32ElEEvPKfPKbPfiPT4_Piiii
    .private_segment_fixed_size: 0
    .sgpr_count:     18
    .sgpr_spill_count: 0
    .symbol:         _ZN4vllm3moe17topkGatingSoftmaxILi2ELi2ELi4ELi8ELi32ElEEvPKfPKbPfiPT4_Piiii.kd
    .uniform_work_group_size: 1
    .uses_dynamic_stack: false
    .vgpr_count:     13
    .vgpr_spill_count: 0
    .wavefront_size: 32
    .workgroup_processor_mode: 1
  - .args:
      - .address_space:  global
        .offset:         0
        .size:           8
        .value_kind:     global_buffer
      - .address_space:  global
        .offset:         8
        .size:           8
        .value_kind:     global_buffer
      - .address_space:  global
        .offset:         16
        .size:           8
        .value_kind:     global_buffer
      - .offset:         24
        .size:           4
        .value_kind:     by_value
      - .address_space:  global
        .offset:         32
        .size:           8
        .value_kind:     global_buffer
      - .address_space:  global
        .offset:         40
        .size:           8
        .value_kind:     global_buffer
      - .offset:         48
        .size:           4
        .value_kind:     by_value
      - .offset:         52
        .size:           4
        .value_kind:     by_value
      - .offset:         56
        .size:           4
        .value_kind:     by_value
    .group_segment_fixed_size: 4096
    .kernarg_segment_align: 8
    .kernarg_segment_size: 60
    .language:       OpenCL C
    .language_version:
      - 2
      - 0
    .max_flat_workgroup_size: 256
    .name:           _ZN4vllm3moe17topkGatingSoftmaxILi4ELi4ELi4ELi16ELi64ElEEvPKfPKbPfiPT4_Piiii
    .private_segment_fixed_size: 0
    .sgpr_count:     18
    .sgpr_spill_count: 0
    .symbol:         _ZN4vllm3moe17topkGatingSoftmaxILi4ELi4ELi4ELi16ELi64ElEEvPKfPKbPfiPT4_Piiii.kd
    .uniform_work_group_size: 1
    .uses_dynamic_stack: false
    .vgpr_count:     20
    .vgpr_spill_count: 0
    .wavefront_size: 32
    .workgroup_processor_mode: 1
  - .args:
      - .address_space:  global
        .offset:         0
        .size:           8
        .value_kind:     global_buffer
      - .address_space:  global
        .offset:         8
        .size:           8
        .value_kind:     global_buffer
      - .address_space:  global
        .offset:         16
        .size:           8
        .value_kind:     global_buffer
      - .offset:         24
        .size:           4
        .value_kind:     by_value
      - .address_space:  global
        .offset:         32
        .size:           8
        .value_kind:     global_buffer
      - .address_space:  global
        .offset:         40
        .size:           8
        .value_kind:     global_buffer
      - .offset:         48
        .size:           4
        .value_kind:     by_value
      - .offset:         52
        .size:           4
        .value_kind:     by_value
      - .offset:         56
        .size:           4
        .value_kind:     by_value
    .group_segment_fixed_size: 2048
    .kernarg_segment_align: 8
    .kernarg_segment_size: 60
    .language:       OpenCL C
    .language_version:
      - 2
      - 0
    .max_flat_workgroup_size: 128
    .name:           _ZN4vllm3moe17topkGatingSoftmaxILi4ELi4ELi4ELi16ELi32ElEEvPKfPKbPfiPT4_Piiii
    .private_segment_fixed_size: 0
    .sgpr_count:     18
    .sgpr_spill_count: 0
    .symbol:         _ZN4vllm3moe17topkGatingSoftmaxILi4ELi4ELi4ELi16ELi32ElEEvPKfPKbPfiPT4_Piiii.kd
    .uniform_work_group_size: 1
    .uses_dynamic_stack: false
    .vgpr_count:     20
    .vgpr_spill_count: 0
    .wavefront_size: 32
    .workgroup_processor_mode: 1
  - .args:
      - .address_space:  global
        .offset:         0
        .size:           8
        .value_kind:     global_buffer
      - .address_space:  global
        .offset:         8
        .size:           8
        .value_kind:     global_buffer
      - .address_space:  global
        .offset:         16
        .size:           8
        .value_kind:     global_buffer
      - .offset:         24
        .size:           4
        .value_kind:     by_value
      - .address_space:  global
        .offset:         32
        .size:           8
        .value_kind:     global_buffer
      - .address_space:  global
        .offset:         40
        .size:           8
        .value_kind:     global_buffer
      - .offset:         48
        .size:           4
        .value_kind:     by_value
      - .offset:         52
        .size:           4
        .value_kind:     by_value
      - .offset:         56
        .size:           4
        .value_kind:     by_value
    .group_segment_fixed_size: 4096
    .kernarg_segment_align: 8
    .kernarg_segment_size: 60
    .language:       OpenCL C
    .language_version:
      - 2
      - 0
    .max_flat_workgroup_size: 256
    .name:           _ZN4vllm3moe17topkGatingSoftmaxILi4ELi8ELi4ELi16ELi64ElEEvPKfPKbPfiPT4_Piiii
    .private_segment_fixed_size: 0
    .sgpr_count:     18
    .sgpr_spill_count: 0
    .symbol:         _ZN4vllm3moe17topkGatingSoftmaxILi4ELi8ELi4ELi16ELi64ElEEvPKfPKbPfiPT4_Piiii.kd
    .uniform_work_group_size: 1
    .uses_dynamic_stack: false
    .vgpr_count:     22
    .vgpr_spill_count: 0
    .wavefront_size: 32
    .workgroup_processor_mode: 1
  - .args:
      - .address_space:  global
        .offset:         0
        .size:           8
        .value_kind:     global_buffer
      - .address_space:  global
        .offset:         8
        .size:           8
        .value_kind:     global_buffer
      - .address_space:  global
        .offset:         16
        .size:           8
        .value_kind:     global_buffer
      - .offset:         24
        .size:           4
        .value_kind:     by_value
      - .address_space:  global
        .offset:         32
        .size:           8
        .value_kind:     global_buffer
      - .address_space:  global
        .offset:         40
        .size:           8
        .value_kind:     global_buffer
      - .offset:         48
        .size:           4
        .value_kind:     by_value
      - .offset:         52
        .size:           4
        .value_kind:     by_value
      - .offset:         56
        .size:           4
        .value_kind:     by_value
    .group_segment_fixed_size: 2048
    .kernarg_segment_align: 8
    .kernarg_segment_size: 60
    .language:       OpenCL C
    .language_version:
      - 2
      - 0
    .max_flat_workgroup_size: 128
    .name:           _ZN4vllm3moe17topkGatingSoftmaxILi4ELi8ELi4ELi16ELi32ElEEvPKfPKbPfiPT4_Piiii
    .private_segment_fixed_size: 0
    .sgpr_count:     18
    .sgpr_spill_count: 0
    .symbol:         _ZN4vllm3moe17topkGatingSoftmaxILi4ELi8ELi4ELi16ELi32ElEEvPKfPKbPfiPT4_Piiii.kd
    .uniform_work_group_size: 1
    .uses_dynamic_stack: false
    .vgpr_count:     22
    .vgpr_spill_count: 0
    .wavefront_size: 32
    .workgroup_processor_mode: 1
  - .args:
      - .address_space:  global
        .offset:         0
        .size:           8
        .value_kind:     global_buffer
      - .address_space:  global
        .offset:         8
        .size:           8
        .value_kind:     global_buffer
      - .address_space:  global
        .offset:         16
        .size:           8
        .value_kind:     global_buffer
      - .offset:         24
        .size:           4
        .value_kind:     by_value
      - .address_space:  global
        .offset:         32
        .size:           8
        .value_kind:     global_buffer
      - .address_space:  global
        .offset:         40
        .size:           8
        .value_kind:     global_buffer
      - .offset:         48
        .size:           4
        .value_kind:     by_value
      - .offset:         52
        .size:           4
        .value_kind:     by_value
      - .offset:         56
        .size:           4
        .value_kind:     by_value
    .group_segment_fixed_size: 4096
    .kernarg_segment_align: 8
    .kernarg_segment_size: 60
    .language:       OpenCL C
    .language_version:
      - 2
      - 0
    .max_flat_workgroup_size: 256
    .name:           _ZN4vllm3moe17topkGatingSoftmaxILi4ELi16ELi4ELi16ELi64ElEEvPKfPKbPfiPT4_Piiii
    .private_segment_fixed_size: 0
    .sgpr_count:     18
    .sgpr_spill_count: 0
    .symbol:         _ZN4vllm3moe17topkGatingSoftmaxILi4ELi16ELi4ELi16ELi64ElEEvPKfPKbPfiPT4_Piiii.kd
    .uniform_work_group_size: 1
    .uses_dynamic_stack: false
    .vgpr_count:     23
    .vgpr_spill_count: 0
    .wavefront_size: 32
    .workgroup_processor_mode: 1
  - .args:
      - .address_space:  global
        .offset:         0
        .size:           8
        .value_kind:     global_buffer
      - .address_space:  global
        .offset:         8
        .size:           8
        .value_kind:     global_buffer
      - .address_space:  global
        .offset:         16
        .size:           8
        .value_kind:     global_buffer
      - .offset:         24
        .size:           4
        .value_kind:     by_value
      - .address_space:  global
        .offset:         32
        .size:           8
        .value_kind:     global_buffer
      - .address_space:  global
        .offset:         40
        .size:           8
        .value_kind:     global_buffer
      - .offset:         48
        .size:           4
        .value_kind:     by_value
      - .offset:         52
        .size:           4
        .value_kind:     by_value
      - .offset:         56
        .size:           4
        .value_kind:     by_value
    .group_segment_fixed_size: 2048
    .kernarg_segment_align: 8
    .kernarg_segment_size: 60
    .language:       OpenCL C
    .language_version:
      - 2
      - 0
    .max_flat_workgroup_size: 128
    .name:           _ZN4vllm3moe17topkGatingSoftmaxILi4ELi16ELi4ELi16ELi32ElEEvPKfPKbPfiPT4_Piiii
    .private_segment_fixed_size: 0
    .sgpr_count:     18
    .sgpr_spill_count: 0
    .symbol:         _ZN4vllm3moe17topkGatingSoftmaxILi4ELi16ELi4ELi16ELi32ElEEvPKfPKbPfiPT4_Piiii.kd
    .uniform_work_group_size: 1
    .uses_dynamic_stack: false
    .vgpr_count:     23
    .vgpr_spill_count: 0
    .wavefront_size: 32
    .workgroup_processor_mode: 1
  - .args:
      - .address_space:  global
        .offset:         0
        .size:           8
        .value_kind:     global_buffer
      - .address_space:  global
        .offset:         8
        .size:           8
        .value_kind:     global_buffer
      - .address_space:  global
        .offset:         16
        .size:           8
        .value_kind:     global_buffer
      - .offset:         24
        .size:           4
        .value_kind:     by_value
      - .address_space:  global
        .offset:         32
        .size:           8
        .value_kind:     global_buffer
      - .address_space:  global
        .offset:         40
        .size:           8
        .value_kind:     global_buffer
      - .offset:         48
        .size:           4
        .value_kind:     by_value
      - .offset:         52
        .size:           4
        .value_kind:     by_value
      - .offset:         56
        .size:           4
        .value_kind:     by_value
    .group_segment_fixed_size: 4096
    .kernarg_segment_align: 8
    .kernarg_segment_size: 60
    .language:       OpenCL C
    .language_version:
      - 2
      - 0
    .max_flat_workgroup_size: 256
    .name:           _ZN4vllm3moe17topkGatingSoftmaxILi4ELi32ELi4ELi16ELi64ElEEvPKfPKbPfiPT4_Piiii
    .private_segment_fixed_size: 0
    .sgpr_count:     18
    .sgpr_spill_count: 0
    .symbol:         _ZN4vllm3moe17topkGatingSoftmaxILi4ELi32ELi4ELi16ELi64ElEEvPKfPKbPfiPT4_Piiii.kd
    .uniform_work_group_size: 1
    .uses_dynamic_stack: false
    .vgpr_count:     24
    .vgpr_spill_count: 0
    .wavefront_size: 32
    .workgroup_processor_mode: 1
  - .args:
      - .address_space:  global
        .offset:         0
        .size:           8
        .value_kind:     global_buffer
      - .address_space:  global
        .offset:         8
        .size:           8
        .value_kind:     global_buffer
      - .address_space:  global
        .offset:         16
        .size:           8
        .value_kind:     global_buffer
      - .offset:         24
        .size:           4
        .value_kind:     by_value
      - .address_space:  global
        .offset:         32
        .size:           8
        .value_kind:     global_buffer
      - .address_space:  global
        .offset:         40
        .size:           8
        .value_kind:     global_buffer
      - .offset:         48
        .size:           4
        .value_kind:     by_value
      - .offset:         52
        .size:           4
        .value_kind:     by_value
      - .offset:         56
        .size:           4
        .value_kind:     by_value
    .group_segment_fixed_size: 2048
    .kernarg_segment_align: 8
    .kernarg_segment_size: 60
    .language:       OpenCL C
    .language_version:
      - 2
      - 0
    .max_flat_workgroup_size: 128
    .name:           _ZN4vllm3moe17topkGatingSoftmaxILi4ELi32ELi4ELi16ELi32ElEEvPKfPKbPfiPT4_Piiii
    .private_segment_fixed_size: 0
    .sgpr_count:     18
    .sgpr_spill_count: 0
    .symbol:         _ZN4vllm3moe17topkGatingSoftmaxILi4ELi32ELi4ELi16ELi32ElEEvPKfPKbPfiPT4_Piiii.kd
    .uniform_work_group_size: 1
    .uses_dynamic_stack: false
    .vgpr_count:     24
    .vgpr_spill_count: 0
    .wavefront_size: 32
    .workgroup_processor_mode: 1
  - .args:
      - .address_space:  global
        .offset:         0
        .size:           8
        .value_kind:     global_buffer
      - .address_space:  global
        .offset:         8
        .size:           8
        .value_kind:     global_buffer
      - .address_space:  global
        .offset:         16
        .size:           8
        .value_kind:     global_buffer
      - .offset:         24
        .size:           4
        .value_kind:     by_value
      - .address_space:  global
        .offset:         32
        .size:           8
        .value_kind:     global_buffer
      - .address_space:  global
        .offset:         40
        .size:           8
        .value_kind:     global_buffer
      - .offset:         48
        .size:           4
        .value_kind:     by_value
      - .offset:         52
        .size:           4
        .value_kind:     by_value
      - .offset:         56
        .size:           4
        .value_kind:     by_value
    .group_segment_fixed_size: 4096
    .kernarg_segment_align: 8
    .kernarg_segment_size: 60
    .language:       OpenCL C
    .language_version:
      - 2
      - 0
    .max_flat_workgroup_size: 256
    .name:           _ZN4vllm3moe17topkGatingSoftmaxILi4ELi64ELi4ELi16ELi64ElEEvPKfPKbPfiPT4_Piiii
    .private_segment_fixed_size: 0
    .sgpr_count:     18
    .sgpr_spill_count: 0
    .symbol:         _ZN4vllm3moe17topkGatingSoftmaxILi4ELi64ELi4ELi16ELi64ElEEvPKfPKbPfiPT4_Piiii.kd
    .uniform_work_group_size: 1
    .uses_dynamic_stack: false
    .vgpr_count:     25
    .vgpr_spill_count: 0
    .wavefront_size: 32
    .workgroup_processor_mode: 1
  - .args:
      - .address_space:  global
        .offset:         0
        .size:           8
        .value_kind:     global_buffer
      - .address_space:  global
        .offset:         8
        .size:           8
        .value_kind:     global_buffer
      - .address_space:  global
        .offset:         16
        .size:           8
        .value_kind:     global_buffer
      - .offset:         24
        .size:           4
        .value_kind:     by_value
      - .address_space:  global
        .offset:         32
        .size:           8
        .value_kind:     global_buffer
      - .address_space:  global
        .offset:         40
        .size:           8
        .value_kind:     global_buffer
      - .offset:         48
        .size:           4
        .value_kind:     by_value
      - .offset:         52
        .size:           4
        .value_kind:     by_value
      - .offset:         56
        .size:           4
        .value_kind:     by_value
    .group_segment_fixed_size: 2048
    .kernarg_segment_align: 8
    .kernarg_segment_size: 60
    .language:       OpenCL C
    .language_version:
      - 2
      - 0
    .max_flat_workgroup_size: 128
    .name:           _ZN4vllm3moe17topkGatingSoftmaxILi4ELi64ELi4ELi16ELi32ElEEvPKfPKbPfiPT4_Piiii
    .private_segment_fixed_size: 0
    .sgpr_count:     18
    .sgpr_spill_count: 0
    .symbol:         _ZN4vllm3moe17topkGatingSoftmaxILi4ELi64ELi4ELi16ELi32ElEEvPKfPKbPfiPT4_Piiii.kd
    .uniform_work_group_size: 1
    .uses_dynamic_stack: false
    .vgpr_count:     25
    .vgpr_spill_count: 0
    .wavefront_size: 32
    .workgroup_processor_mode: 1
  - .args:
      - .address_space:  global
        .offset:         0
        .size:           8
        .value_kind:     global_buffer
      - .address_space:  global
        .offset:         8
        .size:           8
        .value_kind:     global_buffer
      - .address_space:  global
        .offset:         16
        .size:           8
        .value_kind:     global_buffer
      - .offset:         24
        .size:           4
        .value_kind:     by_value
      - .address_space:  global
        .offset:         32
        .size:           8
        .value_kind:     global_buffer
      - .address_space:  global
        .offset:         40
        .size:           8
        .value_kind:     global_buffer
      - .offset:         48
        .size:           4
        .value_kind:     by_value
      - .offset:         52
        .size:           4
        .value_kind:     by_value
      - .offset:         56
        .size:           4
        .value_kind:     by_value
    .group_segment_fixed_size: 4096
    .kernarg_segment_align: 8
    .kernarg_segment_size: 60
    .language:       OpenCL C
    .language_version:
      - 2
      - 0
    .max_flat_workgroup_size: 256
    .name:           _ZN4vllm3moe17topkGatingSoftmaxILi4ELi128ELi4ELi16ELi64ElEEvPKfPKbPfiPT4_Piiii
    .private_segment_fixed_size: 0
    .sgpr_count:     18
    .sgpr_spill_count: 0
    .symbol:         _ZN4vllm3moe17topkGatingSoftmaxILi4ELi128ELi4ELi16ELi64ElEEvPKfPKbPfiPT4_Piiii.kd
    .uniform_work_group_size: 1
    .uses_dynamic_stack: false
    .vgpr_count:     26
    .vgpr_spill_count: 0
    .wavefront_size: 32
    .workgroup_processor_mode: 1
  - .args:
      - .address_space:  global
        .offset:         0
        .size:           8
        .value_kind:     global_buffer
      - .address_space:  global
        .offset:         8
        .size:           8
        .value_kind:     global_buffer
      - .address_space:  global
        .offset:         16
        .size:           8
        .value_kind:     global_buffer
      - .offset:         24
        .size:           4
        .value_kind:     by_value
      - .address_space:  global
        .offset:         32
        .size:           8
        .value_kind:     global_buffer
      - .address_space:  global
        .offset:         40
        .size:           8
        .value_kind:     global_buffer
      - .offset:         48
        .size:           4
        .value_kind:     by_value
      - .offset:         52
        .size:           4
        .value_kind:     by_value
      - .offset:         56
        .size:           4
        .value_kind:     by_value
    .group_segment_fixed_size: 2048
    .kernarg_segment_align: 8
    .kernarg_segment_size: 60
    .language:       OpenCL C
    .language_version:
      - 2
      - 0
    .max_flat_workgroup_size: 128
    .name:           _ZN4vllm3moe17topkGatingSoftmaxILi4ELi128ELi4ELi16ELi32ElEEvPKfPKbPfiPT4_Piiii
    .private_segment_fixed_size: 0
    .sgpr_count:     18
    .sgpr_spill_count: 0
    .symbol:         _ZN4vllm3moe17topkGatingSoftmaxILi4ELi128ELi4ELi16ELi32ElEEvPKfPKbPfiPT4_Piiii.kd
    .uniform_work_group_size: 1
    .uses_dynamic_stack: false
    .vgpr_count:     26
    .vgpr_spill_count: 0
    .wavefront_size: 32
    .workgroup_processor_mode: 1
  - .args:
      - .address_space:  global
        .offset:         0
        .size:           8
        .value_kind:     global_buffer
      - .address_space:  global
        .offset:         8
        .size:           8
        .value_kind:     global_buffer
      - .address_space:  global
        .offset:         16
        .size:           8
        .value_kind:     global_buffer
      - .offset:         24
        .size:           4
        .value_kind:     by_value
      - .address_space:  global
        .offset:         32
        .size:           8
        .value_kind:     global_buffer
      - .address_space:  global
        .offset:         40
        .size:           8
        .value_kind:     global_buffer
      - .offset:         48
        .size:           4
        .value_kind:     by_value
      - .offset:         52
        .size:           4
        .value_kind:     by_value
      - .offset:         56
        .size:           4
        .value_kind:     by_value
    .group_segment_fixed_size: 4096
    .kernarg_segment_align: 8
    .kernarg_segment_size: 60
    .language:       OpenCL C
    .language_version:
      - 2
      - 0
    .max_flat_workgroup_size: 256
    .name:           _ZN4vllm3moe17topkGatingSoftmaxILi4ELi256ELi4ELi16ELi64ElEEvPKfPKbPfiPT4_Piiii
    .private_segment_fixed_size: 0
    .sgpr_count:     18
    .sgpr_spill_count: 0
    .symbol:         _ZN4vllm3moe17topkGatingSoftmaxILi4ELi256ELi4ELi16ELi64ElEEvPKfPKbPfiPT4_Piiii.kd
    .uniform_work_group_size: 1
    .uses_dynamic_stack: false
    .vgpr_count:     27
    .vgpr_spill_count: 0
    .wavefront_size: 32
    .workgroup_processor_mode: 1
  - .args:
      - .address_space:  global
        .offset:         0
        .size:           8
        .value_kind:     global_buffer
      - .address_space:  global
        .offset:         8
        .size:           8
        .value_kind:     global_buffer
      - .address_space:  global
        .offset:         16
        .size:           8
        .value_kind:     global_buffer
      - .offset:         24
        .size:           4
        .value_kind:     by_value
      - .address_space:  global
        .offset:         32
        .size:           8
        .value_kind:     global_buffer
      - .address_space:  global
        .offset:         40
        .size:           8
        .value_kind:     global_buffer
      - .offset:         48
        .size:           4
        .value_kind:     by_value
      - .offset:         52
        .size:           4
        .value_kind:     by_value
      - .offset:         56
        .size:           4
        .value_kind:     by_value
    .group_segment_fixed_size: 4096
    .kernarg_segment_align: 8
    .kernarg_segment_size: 60
    .language:       OpenCL C
    .language_version:
      - 2
      - 0
    .max_flat_workgroup_size: 128
    .name:           _ZN4vllm3moe17topkGatingSoftmaxILi8ELi256ELi4ELi16ELi32ElEEvPKfPKbPfiPT4_Piiii
    .private_segment_fixed_size: 0
    .sgpr_count:     18
    .sgpr_spill_count: 0
    .symbol:         _ZN4vllm3moe17topkGatingSoftmaxILi8ELi256ELi4ELi16ELi32ElEEvPKfPKbPfiPT4_Piiii.kd
    .uniform_work_group_size: 1
    .uses_dynamic_stack: false
    .vgpr_count:     42
    .vgpr_spill_count: 0
    .wavefront_size: 32
    .workgroup_processor_mode: 1
  - .args:
      - .address_space:  global
        .offset:         0
        .size:           8
        .value_kind:     global_buffer
      - .address_space:  global
        .offset:         8
        .size:           8
        .value_kind:     global_buffer
      - .address_space:  global
        .offset:         16
        .size:           8
        .value_kind:     global_buffer
      - .offset:         24
        .size:           4
        .value_kind:     by_value
      - .address_space:  global
        .offset:         32
        .size:           8
        .value_kind:     global_buffer
      - .address_space:  global
        .offset:         40
        .size:           8
        .value_kind:     global_buffer
      - .offset:         48
        .size:           4
        .value_kind:     by_value
      - .offset:         52
        .size:           4
        .value_kind:     by_value
      - .offset:         56
        .size:           4
        .value_kind:     by_value
    .group_segment_fixed_size: 8192
    .kernarg_segment_align: 8
    .kernarg_segment_size: 60
    .language:       OpenCL C
    .language_version:
      - 2
      - 0
    .max_flat_workgroup_size: 256
    .name:           _ZN4vllm3moe17topkGatingSoftmaxILi8ELi512ELi4ELi16ELi64ElEEvPKfPKbPfiPT4_Piiii
    .private_segment_fixed_size: 0
    .sgpr_count:     18
    .sgpr_spill_count: 0
    .symbol:         _ZN4vllm3moe17topkGatingSoftmaxILi8ELi512ELi4ELi16ELi64ElEEvPKfPKbPfiPT4_Piiii.kd
    .uniform_work_group_size: 1
    .uses_dynamic_stack: false
    .vgpr_count:     43
    .vgpr_spill_count: 0
    .wavefront_size: 32
    .workgroup_processor_mode: 1
  - .args:
      - .address_space:  global
        .offset:         0
        .size:           8
        .value_kind:     global_buffer
      - .address_space:  global
        .offset:         8
        .size:           8
        .value_kind:     global_buffer
      - .address_space:  global
        .offset:         16
        .size:           8
        .value_kind:     global_buffer
      - .offset:         24
        .size:           4
        .value_kind:     by_value
      - .address_space:  global
        .offset:         32
        .size:           8
        .value_kind:     global_buffer
      - .address_space:  global
        .offset:         40
        .size:           8
        .value_kind:     global_buffer
      - .offset:         48
        .size:           4
        .value_kind:     by_value
      - .offset:         52
        .size:           4
        .value_kind:     by_value
      - .offset:         56
        .size:           4
        .value_kind:     by_value
    .group_segment_fixed_size: 8192
    .kernarg_segment_align: 8
    .kernarg_segment_size: 60
    .language:       OpenCL C
    .language_version:
      - 2
      - 0
    .max_flat_workgroup_size: 128
    .name:           _ZN4vllm3moe17topkGatingSoftmaxILi16ELi512ELi4ELi16ELi32ElEEvPKfPKbPfiPT4_Piiii
    .private_segment_fixed_size: 0
    .sgpr_count:     18
    .sgpr_spill_count: 0
    .symbol:         _ZN4vllm3moe17topkGatingSoftmaxILi16ELi512ELi4ELi16ELi32ElEEvPKfPKbPfiPT4_Piiii.kd
    .uniform_work_group_size: 1
    .uses_dynamic_stack: false
    .vgpr_count:     74
    .vgpr_spill_count: 0
    .wavefront_size: 32
    .workgroup_processor_mode: 1
  - .args:
      - .address_space:  global
        .offset:         0
        .size:           8
        .value_kind:     global_buffer
      - .address_space:  global
        .offset:         8
        .size:           8
        .value_kind:     global_buffer
      - .address_space:  global
        .offset:         16
        .size:           8
        .value_kind:     global_buffer
      - .address_space:  global
        .offset:         24
        .size:           8
        .value_kind:     global_buffer
      - .address_space:  global
        .offset:         32
        .size:           8
        .value_kind:     global_buffer
      - .offset:         40
        .size:           4
        .value_kind:     by_value
      - .offset:         44
        .size:           4
        .value_kind:     by_value
      - .offset:         48
        .size:           4
        .value_kind:     by_value
      - .offset:         52
        .size:           4
        .value_kind:     by_value
      - .offset:         56
        .size:           4
        .value_kind:     hidden_block_count_x
      - .offset:         60
        .size:           4
        .value_kind:     hidden_block_count_y
      - .offset:         64
        .size:           4
        .value_kind:     hidden_block_count_z
      - .offset:         68
        .size:           2
        .value_kind:     hidden_group_size_x
      - .offset:         70
        .size:           2
        .value_kind:     hidden_group_size_y
      - .offset:         72
        .size:           2
        .value_kind:     hidden_group_size_z
      - .offset:         74
        .size:           2
        .value_kind:     hidden_remainder_x
      - .offset:         76
        .size:           2
        .value_kind:     hidden_remainder_y
      - .offset:         78
        .size:           2
        .value_kind:     hidden_remainder_z
      - .offset:         96
        .size:           8
        .value_kind:     hidden_global_offset_x
      - .offset:         104
        .size:           8
        .value_kind:     hidden_global_offset_y
      - .offset:         112
        .size:           8
        .value_kind:     hidden_global_offset_z
      - .offset:         120
        .size:           2
        .value_kind:     hidden_grid_dims
      - .offset:         136
        .size:           8
        .value_kind:     hidden_hostcall_buffer
    .group_segment_fixed_size: 64
    .kernarg_segment_align: 8
    .kernarg_segment_size: 312
    .language:       OpenCL C
    .language_version:
      - 2
      - 0
    .max_flat_workgroup_size: 256
    .name:           _ZN4vllm3moe7moeTopKILi256ElEEvPKfPKbPfPT0_Piiiii
    .private_segment_fixed_size: 64
    .sgpr_count:     42
    .sgpr_spill_count: 0
    .symbol:         _ZN4vllm3moe7moeTopKILi256ElEEvPKfPKbPfPT0_Piiiii.kd
    .uniform_work_group_size: 1
    .uses_dynamic_stack: false
    .vgpr_count:     41
    .vgpr_spill_count: 0
    .wavefront_size: 32
    .workgroup_processor_mode: 1
amdhsa.target:   amdgcn-amd-amdhsa--gfx1100
amdhsa.version:
  - 1
  - 2
...

	.end_amdgpu_metadata
